;; amdgpu-corpus repo=triton-lang/triton kind=triton arch=gfx1201 opt=O3 lang=triton
	.amdgcn_target "amdgcn-amd-amdhsa--gfx1201"
	.amdhsa_code_object_version 5
	.text
	.globl	_attn_bwd                       ; -- Begin function _attn_bwd
	.p2align	8
	.type	_attn_bwd,@function
_attn_bwd:                              ; @_attn_bwd
.Lfunc_begin0:
	.file	1 "/root/src/amdgpu-assembly/repos/triton-lang__triton-aot" "attention_bwd.py"
	.loc	1 126 0                         ; attention_bwd.py:126:0
	.cfi_sections .debug_frame
	.cfi_startproc
; %bb.0:
	s_clause 0x2
	s_load_b64 vcc, s[0:1], 0x60
	s_load_b128 s[8:11], s[0:1], 0x50
	s_load_b128 s[52:55], s[0:1], 0x0
                                        ; implicit-def: $vgpr250 : SGPR spill to VGPR lane
	s_lshr_b32 s104, ttmp7, 16
.Ltmp0:
	.loc	1 103 21 prologue_end           ; attention_bwd.py:103:21 @[ attention_bwd.py:253:40 ]
	s_bfe_u32 s33, ttmp8, 0x50019
.Ltmp1:
	.loc	1 165 36                        ; attention_bwd.py:165:36
	v_and_b32_e32 v226, 31, v0
                                        ; implicit-def: $vgpr251 : SGPR spill to VGPR lane
                                        ; implicit-def: $vgpr253 : SGPR spill to VGPR lane
                                        ; implicit-def: $vgpr254 : SGPR spill to VGPR lane
                                        ; implicit-def: $vgpr252 : SGPR spill to VGPR lane
	.loc	1 144 55                        ; attention_bwd.py:144:55
	s_wait_kmcnt 0x0
	s_abs_i32 s2, vcc_lo
	s_ashr_i32 s12, vcc_lo, 31
	s_cvt_f32_u32 s3, s2
	s_sub_co_i32 s4, 0, s2
	v_writelane_b32 v250, s52, 0
	s_delay_alu instid0(SALU_CYCLE_1) | instskip(SKIP_2) | instid1(TRANS32_DEP_1)
	v_rcp_iflag_f32_e32 v1, s3
	v_writelane_b32 v250, s53, 1
	v_writelane_b32 v250, s54, 2
	v_readfirstlane_b32 s3, v1
	v_writelane_b32 v250, s55, 3
	s_mul_f32 s3, s3, 0x4f7ffffe
	s_wait_alu depctr_sa_sdst(0)
	s_delay_alu instid0(SALU_CYCLE_2) | instskip(SKIP_1) | instid1(SALU_CYCLE_2)
	s_cvt_u32_f32 s3, s3
	s_wait_alu depctr_sa_sdst(0)
	s_mul_i32 s4, s4, s3
	s_delay_alu instid0(SALU_CYCLE_1) | instskip(NEXT) | instid1(SALU_CYCLE_1)
	s_mul_hi_u32 s4, s3, s4
	s_add_co_i32 s3, s3, s4
	s_wait_alu depctr_sa_sdst(0)
	s_mul_hi_u32 s3, s104, s3
	s_wait_alu depctr_sa_sdst(0)
	s_mul_i32 s4, s3, s2
	s_add_co_i32 s14, s3, 1
	s_sub_co_i32 s13, s104, s4
	s_delay_alu instid0(SALU_CYCLE_1)
	s_sub_co_i32 s15, s13, s2
	s_cmp_ge_u32 s13, s2
	s_cselect_b32 s3, s14, s3
	s_cselect_b32 s13, s15, s13
	s_wait_alu depctr_sa_sdst(0)
	s_add_co_i32 s14, s3, 1
	s_cmp_ge_u32 s13, s2
	s_cselect_b32 s2, s14, s3
	.loc	1 165 36                        ; attention_bwd.py:165:36
	s_lshl_b32 s5, s33, 5
	.loc	1 161 20                        ; attention_bwd.py:161:20
	s_lshl_b32 s3, ttmp9, 7
	.loc	1 165 36                        ; attention_bwd.py:165:36
	v_writelane_b32 v250, s5, 4
	s_bfe_u32 s4, s33, 0x10001
	.loc	1 144 55                        ; attention_bwd.py:144:55
	s_wait_alu depctr_sa_sdst(0)
	s_xor_b32 s2, s2, s12
	.loc	1 165 36                        ; attention_bwd.py:165:36
	s_or_b32 s67, s4, s3
	.loc	1 144 55                        ; attention_bwd.py:144:55
	s_wait_alu depctr_sa_sdst(0)
	s_sub_co_i32 s2, s2, s12
	v_writelane_b32 v250, s3, 6
	.loc	1 165 23                        ; attention_bwd.py:165:23
	s_or_b32 s14, s67, 4
	s_or_b32 s42, s67, 22
	;; [unrolled: 1-line block ×3, first 2 shown]
	.loc	1 144 30                        ; attention_bwd.py:144:30
	s_wait_alu depctr_sa_sdst(0)
	s_mul_i32 s53, s2, vcc_lo
	v_writelane_b32 v250, s4, 7
	.loc	1 171 38                        ; attention_bwd.py:171:38
	s_mul_i32 s30, s10, s14
	.loc	1 144 47                        ; attention_bwd.py:144:47
	s_mul_i32 s2, s2, s8
	.loc	1 144 30 is_stmt 0              ; attention_bwd.py:144:30
	s_wait_alu depctr_sa_sdst(0)
	s_sub_co_i32 s8, s104, s53
	.loc	1 171 38 is_stmt 1              ; attention_bwd.py:171:38
	s_mul_i32 s68, s10, s42
	v_writelane_b32 v250, s0, 9
	s_mul_i32 s42, s10, s31
	.loc	1 171 20 is_stmt 0              ; attention_bwd.py:171:20
	s_ashr_i32 s31, s30, 31
	.loc	1 144 23 is_stmt 1              ; attention_bwd.py:144:23
	s_mul_i32 s8, s8, s9
	s_load_b64 s[6:7], s[0:1], 0x10
	v_writelane_b32 v250, s1, 10
	.loc	1 171 20                        ; attention_bwd.py:171:20
	s_lshl_b64 s[0:1], s[30:31], 1
	.loc	1 144 35                        ; attention_bwd.py:144:35
	s_add_co_i32 s8, s2, s8
	.loc	1 165 36                        ; attention_bwd.py:165:36
	v_or_b32_e32 v225, s5, v226
	.loc	1 165 23 is_stmt 0              ; attention_bwd.py:165:23
	s_or_b32 s16, s67, 6
	.loc	1 171 20 is_stmt 1              ; attention_bwd.py:171:20
	s_wait_alu depctr_sa_sdst(0)
	v_writelane_b32 v250, s0, 11
	.loc	1 144 62                        ; attention_bwd.py:144:62
	s_ashr_i32 s9, s8, 31
	.loc	1 165 23                        ; attention_bwd.py:165:23
	s_or_b32 s22, s67, 14
	s_or_b32 s23, s67, 16
	s_or_b32 s40, s67, 46
	s_or_b32 s29, s67, 58
	.loc	1 171 38                        ; attention_bwd.py:171:38
	s_mul_i32 s28, s10, s16
	.loc	1 148 9                         ; attention_bwd.py:148:9
	s_lshl_b64 s[8:9], s[8:9], 1
	.loc	1 171 20                        ; attention_bwd.py:171:20
	v_writelane_b32 v250, s1, 12
	.loc	1 171 38 is_stmt 0              ; attention_bwd.py:171:38
	s_mul_i32 s16, s10, s22
	s_mul_i32 s14, s10, s23
	.loc	1 149 9 is_stmt 1               ; attention_bwd.py:149:9
	s_add_nc_u64 s[22:23], s[54:55], s[8:9]
	.loc	1 171 58                        ; attention_bwd.py:171:58
	v_and_b32_e32 v233, 63, v225
	.loc	1 171 38 is_stmt 0              ; attention_bwd.py:171:38
	s_mul_i32 s54, s10, s40
	s_mul_i32 s40, s10, s29
	.loc	1 171 20                        ; attention_bwd.py:171:20
	s_ashr_i32 s29, s28, 31
	s_add_nc_u64 s[30:31], s[22:23], s[0:1]
	s_lshl_b64 s[0:1], s[28:29], 1
	.loc	1 171 69                        ; attention_bwd.py:171:69
	v_mul_lo_u32 v1, s11, v233
	.loc	1 171 20                        ; attention_bwd.py:171:20
	s_wait_alu depctr_sa_sdst(0)
	v_writelane_b32 v250, s0, 13
	.loc	1 165 23 is_stmt 1              ; attention_bwd.py:165:23
	s_or_b32 s18, s67, 8
	s_or_b32 s48, s67, 34
	;; [unrolled: 1-line block ×3, first 2 shown]
	.loc	1 171 38                        ; attention_bwd.py:171:38
	s_mul_i32 s26, s10, s18
	.loc	1 171 20 is_stmt 0              ; attention_bwd.py:171:20
	v_writelane_b32 v250, s1, 14
	.loc	1 171 38                        ; attention_bwd.py:171:38
	s_mul_i32 s80, s10, s48
	s_mul_i32 s48, s10, s27
	.loc	1 171 20                        ; attention_bwd.py:171:20
	s_ashr_i32 s27, s26, 31
	s_add_nc_u64 s[28:29], s[22:23], s[0:1]
	s_lshl_b64 s[0:1], s[26:27], 1
	.loc	1 171 51                        ; attention_bwd.py:171:51
	v_ashrrev_i32_e32 v2, 31, v1
	.loc	1 171 20                        ; attention_bwd.py:171:20
	s_wait_alu depctr_sa_sdst(0)
	v_writelane_b32 v250, s0, 15
	.loc	1 165 23 is_stmt 1              ; attention_bwd.py:165:23
	s_or_b32 s21, s67, 12
	s_or_b32 s35, s67, 40
	.loc	1 171 38                        ; attention_bwd.py:171:38
	s_mul_i32 s34, s10, s67
	.loc	1 165 23                        ; attention_bwd.py:165:23
	s_or_b32 s12, s67, 2
	s_or_b32 s52, s67, 20
	;; [unrolled: 1-line block ×3, first 2 shown]
	.loc	1 171 38                        ; attention_bwd.py:171:38
	s_mul_i32 s18, s10, s21
	s_mul_i32 s86, s10, s35
	.loc	1 171 20 is_stmt 0              ; attention_bwd.py:171:20
	s_ashr_i32 s35, s34, 31
	.loc	1 171 51                        ; attention_bwd.py:171:51
	v_lshlrev_b64_e32 v[244:245], 1, v[1:2]
	.loc	1 171 20                        ; attention_bwd.py:171:20
	v_writelane_b32 v250, s1, 16
	.loc	1 165 23 is_stmt 1              ; attention_bwd.py:165:23
	s_or_b32 s37, s67, 42
	.loc	1 171 38                        ; attention_bwd.py:171:38
	s_mul_i32 s36, s10, s12
	s_wait_alu depctr_sa_sdst(0)
	s_mul_i32 s2, s10, s52
	s_mul_i32 s52, s10, s19
	.loc	1 171 20 is_stmt 0              ; attention_bwd.py:171:20
	s_lshl_b64 s[92:93], s[34:35], 1
	s_ashr_i32 s19, s18, 31
	.loc	1 171 38                        ; attention_bwd.py:171:38
	s_mul_i32 s58, s10, s37
	.loc	1 171 20                        ; attention_bwd.py:171:20
	s_ashr_i32 s37, s36, 31
	s_add_nc_u64 s[34:35], s[22:23], s[92:93]
	s_add_nc_u64 s[26:27], s[22:23], s[0:1]
	s_lshl_b64 s[0:1], s[18:19], 1
	s_lshl_b64 s[90:91], s[36:37], 1
	.loc	1 171 51                        ; attention_bwd.py:171:51
	v_add_co_u32 v99, vcc_lo, s34, v244
	.loc	1 171 20                        ; attention_bwd.py:171:20
	s_wait_alu depctr_sa_sdst(0)
	v_writelane_b32 v250, s0, 17
	.loc	1 165 23 is_stmt 1              ; attention_bwd.py:165:23
	s_or_b32 s20, s67, 10
	s_or_b32 s51, s67, 18
	.loc	1 171 51                        ; attention_bwd.py:171:51
	v_add_co_ci_u32_e64 v100, null, s35, v245, vcc_lo
	.loc	1 171 20 is_stmt 0              ; attention_bwd.py:171:20
	s_add_nc_u64 s[34:35], s[22:23], s[90:91]
	.loc	1 165 23 is_stmt 1              ; attention_bwd.py:165:23
	s_or_b32 s46, s67, 30
	s_or_b32 s38, s67, 44
	;; [unrolled: 1-line block ×4, first 2 shown]
	.loc	1 171 38                        ; attention_bwd.py:171:38
	s_mul_i32 s24, s10, s20
	s_mul_i32 s12, s10, s51
	.loc	1 171 51 is_stmt 0              ; attention_bwd.py:171:51
	s_wait_alu depctr_sa_sdst(0)
	v_add_co_u32 v89, vcc_lo, s34, v244
	.loc	1 171 20                        ; attention_bwd.py:171:20
	v_writelane_b32 v250, s1, 18
	.loc	1 171 38                        ; attention_bwd.py:171:38
	s_mul_i32 s76, s10, s46
	s_mul_i32 s60, s10, s38
	s_mul_i32 s46, s10, s25
	s_mul_i32 s38, s10, s13
	.loc	1 171 51                        ; attention_bwd.py:171:51
	s_wait_alu depctr_va_vcc(0)
	v_add_co_ci_u32_e64 v90, null, s35, v245, vcc_lo
	v_add_co_u32 v91, vcc_lo, s30, v244
	.loc	1 171 20                        ; attention_bwd.py:171:20
	s_ashr_i32 s25, s24, 31
	s_ashr_i32 s13, s12, 31
	.loc	1 165 23 is_stmt 1              ; attention_bwd.py:165:23
	s_or_b32 s50, s67, 38
	s_or_b32 s17, s67, 50
	.loc	1 171 51                        ; attention_bwd.py:171:51
	s_wait_alu depctr_va_vcc(0)
	v_add_co_ci_u32_e64 v92, null, s31, v245, vcc_lo
	v_add_co_u32 v3, vcc_lo, s28, v244
	.loc	1 171 20 is_stmt 0              ; attention_bwd.py:171:20
	s_lshl_b64 s[98:99], s[24:25], 1
	s_add_nc_u64 s[18:19], s[22:23], s[0:1]
	s_lshl_b64 s[0:1], s[12:13], 1
	.loc	1 165 23 is_stmt 1              ; attention_bwd.py:165:23
	s_or_b32 s15, s67, 48
	.loc	1 171 38                        ; attention_bwd.py:171:38
	s_mul_i32 s62, s10, s50
	s_mul_i32 s50, s10, s17
	.loc	1 171 51 is_stmt 0              ; attention_bwd.py:171:51
	s_wait_alu depctr_va_vcc(0)
	v_add_co_ci_u32_e64 v4, null, s29, v245, vcc_lo
	v_add_co_u32 v97, vcc_lo, s26, v244
	.loc	1 171 20                        ; attention_bwd.py:171:20
	s_add_nc_u64 s[24:25], s[22:23], s[98:99]
	s_ashr_i32 s17, s16, 31
	s_wait_alu depctr_sa_sdst(0)
	v_writelane_b32 v250, s0, 19
	.loc	1 171 38                        ; attention_bwd.py:171:38
	s_mul_i32 s56, s10, s15
	.loc	1 171 51                        ; attention_bwd.py:171:51
	s_wait_alu depctr_va_vcc(0)
	v_add_co_ci_u32_e64 v98, null, s27, v245, vcc_lo
	v_add_co_u32 v105, vcc_lo, s24, v244
	.loc	1 171 20                        ; attention_bwd.py:171:20
	s_lshl_b64 s[100:101], s[16:17], 1
	s_ashr_i32 s15, s14, 31
	.loc	1 165 23 is_stmt 1              ; attention_bwd.py:165:23
	s_or_b32 s44, s67, 26
	s_or_b32 s3, s67, 64
	.loc	1 171 51                        ; attention_bwd.py:171:51
	s_wait_alu depctr_va_vcc(0)
	v_add_co_ci_u32_e64 v106, null, s25, v245, vcc_lo
	v_add_co_u32 v93, vcc_lo, s18, v244
	.loc	1 171 20 is_stmt 0              ; attention_bwd.py:171:20
	s_add_nc_u64 s[16:17], s[22:23], s[100:101]
	s_lshl_b64 s[4:5], s[14:15], 1
	v_writelane_b32 v250, s1, 20
	.loc	1 171 38                        ; attention_bwd.py:171:38
	s_mul_i32 s72, s10, s44
	s_wait_alu depctr_sa_sdst(0)
	s_mul_i32 s44, s10, s3
	.loc	1 171 51                        ; attention_bwd.py:171:51
	s_wait_alu depctr_va_vcc(0)
	v_add_co_ci_u32_e64 v94, null, s19, v245, vcc_lo
	v_add_co_u32 v5, vcc_lo, s16, v244
	.loc	1 171 20                        ; attention_bwd.py:171:20
	s_add_nc_u64 s[14:15], s[22:23], s[4:5]
	s_ashr_i32 s3, s2, 31
	.loc	1 171 51                        ; attention_bwd.py:171:51
	s_wait_alu depctr_va_vcc(0)
	v_add_co_ci_u32_e64 v6, null, s17, v245, vcc_lo
	v_add_co_u32 v111, vcc_lo, s14, v244
	.loc	1 171 20                        ; attention_bwd.py:171:20
	s_add_nc_u64 s[12:13], s[22:23], s[0:1]
	s_wait_alu depctr_sa_sdst(0)
	s_lshl_b64 s[0:1], s[2:3], 1
	.loc	1 165 23 is_stmt 1              ; attention_bwd.py:165:23
	s_or_b32 s43, s67, 24
	.loc	1 171 51                        ; attention_bwd.py:171:51
	s_wait_alu depctr_va_vcc(0)
	v_add_co_ci_u32_e64 v112, null, s15, v245, vcc_lo
	.loc	1 171 20 is_stmt 0              ; attention_bwd.py:171:20
	s_wait_alu depctr_sa_sdst(0)
	v_writelane_b32 v250, s0, 21
	s_ashr_i32 s69, s68, 31
	.loc	1 171 51                        ; attention_bwd.py:171:51
	v_add_co_u32 v101, vcc_lo, s12, v244
	.loc	1 171 20                        ; attention_bwd.py:171:20
	s_add_nc_u64 s[2:3], s[22:23], s[0:1]
	.loc	1 171 38                        ; attention_bwd.py:171:38
	s_mul_i32 s70, s10, s43
	.loc	1 171 51                        ; attention_bwd.py:171:51
	s_wait_alu depctr_va_vcc(0)
	v_add_co_ci_u32_e64 v102, null, s13, v245, vcc_lo
	.loc	1 171 20                        ; attention_bwd.py:171:20
	s_lshl_b64 s[18:19], s[68:69], 1
	.loc	1 171 51                        ; attention_bwd.py:171:51
	s_wait_alu depctr_sa_sdst(0)
	v_add_co_u32 v107, vcc_lo, s2, v244
	.loc	1 171 20                        ; attention_bwd.py:171:20
	s_ashr_i32 s71, s70, 31
	.loc	1 171 51                        ; attention_bwd.py:171:51
	s_wait_alu depctr_va_vcc(0)
	v_add_co_ci_u32_e64 v108, null, s3, v245, vcc_lo
	.loc	1 171 20                        ; attention_bwd.py:171:20
	s_add_nc_u64 s[2:3], s[22:23], s[18:19]
	s_lshl_b64 s[34:35], s[70:71], 1
	.loc	1 171 51                        ; attention_bwd.py:171:51
	s_wait_alu depctr_sa_sdst(0)
	v_add_co_u32 v7, vcc_lo, s2, v244
	.loc	1 165 23 is_stmt 1              ; attention_bwd.py:165:23
	s_or_b32 s45, s67, 28
	.loc	1 171 20                        ; attention_bwd.py:171:20
	s_ashr_i32 s73, s72, 31
	.loc	1 171 51 is_stmt 0              ; attention_bwd.py:171:51
	s_wait_alu depctr_va_vcc(0)
	v_add_co_ci_u32_e64 v8, null, s3, v245, vcc_lo
	.loc	1 171 20                        ; attention_bwd.py:171:20
	s_add_nc_u64 s[2:3], s[22:23], s[34:35]
	.loc	1 171 38                        ; attention_bwd.py:171:38
	s_mul_i32 s74, s10, s45
	.loc	1 171 20                        ; attention_bwd.py:171:20
	s_lshl_b64 s[68:69], s[72:73], 1
	.loc	1 171 51                        ; attention_bwd.py:171:51
	s_wait_alu depctr_sa_sdst(0)
	v_add_co_u32 v103, vcc_lo, s2, v244
	.loc	1 165 23 is_stmt 1              ; attention_bwd.py:165:23
	s_or_b32 s41, s67, 0x42
	.loc	1 171 20                        ; attention_bwd.py:171:20
	s_ashr_i32 s75, s74, 31
	.loc	1 171 51 is_stmt 0              ; attention_bwd.py:171:51
	s_wait_alu depctr_va_vcc(0)
	v_add_co_ci_u32_e64 v104, null, s3, v245, vcc_lo
	.loc	1 171 20                        ; attention_bwd.py:171:20
	s_add_nc_u64 s[2:3], s[22:23], s[68:69]
	.loc	1 165 23 is_stmt 1              ; attention_bwd.py:165:23
	s_or_b32 s47, s67, 32
	.loc	1 171 20                        ; attention_bwd.py:171:20
	s_lshl_b64 s[70:71], s[74:75], 1
	.loc	1 171 51 is_stmt 0              ; attention_bwd.py:171:51
	s_wait_alu depctr_sa_sdst(0)
	v_add_co_u32 v109, vcc_lo, s2, v244
	.loc	1 171 38                        ; attention_bwd.py:171:38
	s_mul_i32 s2, s10, s41
	.loc	1 171 20                        ; attention_bwd.py:171:20
	s_ashr_i32 s77, s76, 31
	.loc	1 171 38                        ; attention_bwd.py:171:38
	s_mul_i32 s78, s10, s47
	.loc	1 171 51                        ; attention_bwd.py:171:51
	s_wait_alu depctr_va_vcc(0)
	v_add_co_ci_u32_e64 v110, null, s3, v245, vcc_lo
	.loc	1 171 20                        ; attention_bwd.py:171:20
	s_add_nc_u64 s[12:13], s[22:23], s[70:71]
	s_lshl_b64 s[88:89], s[76:77], 1
	s_wait_alu depctr_sa_sdst(0)
	s_ashr_i32 s3, s2, 31
	.loc	1 171 51                        ; attention_bwd.py:171:51
	v_add_co_u32 v95, vcc_lo, s12, v244
	.loc	1 171 20                        ; attention_bwd.py:171:20
	s_ashr_i32 s79, s78, 31
	s_wait_alu depctr_sa_sdst(0)
	s_lshl_b64 s[14:15], s[2:3], 1
	s_add_nc_u64 s[2:3], s[22:23], s[88:89]
	.loc	1 171 51                        ; attention_bwd.py:171:51
	s_wait_alu depctr_va_vcc(0)
	v_add_co_ci_u32_e64 v96, null, s13, v245, vcc_lo
	.loc	1 171 20                        ; attention_bwd.py:171:20
	s_lshl_b64 s[74:75], s[78:79], 1
	.loc	1 171 51                        ; attention_bwd.py:171:51
	s_wait_alu depctr_sa_sdst(0)
	v_add_co_u32 v9, vcc_lo, s2, v244
	.loc	1 165 23 is_stmt 1              ; attention_bwd.py:165:23
	s_or_b32 s49, s67, 36
	.loc	1 171 20                        ; attention_bwd.py:171:20
	s_ashr_i32 s81, s80, 31
	.loc	1 171 51 is_stmt 0              ; attention_bwd.py:171:51
	s_wait_alu depctr_va_vcc(0)
	v_add_co_ci_u32_e64 v10, null, s3, v245, vcc_lo
	.loc	1 171 20                        ; attention_bwd.py:171:20
	s_add_nc_u64 s[2:3], s[22:23], s[74:75]
	.loc	1 171 38                        ; attention_bwd.py:171:38
	s_mul_i32 s84, s10, s49
	.loc	1 171 20                        ; attention_bwd.py:171:20
	s_lshl_b64 s[76:77], s[80:81], 1
	.loc	1 171 51                        ; attention_bwd.py:171:51
	s_wait_alu depctr_sa_sdst(0)
	v_add_co_u32 v129, vcc_lo, s2, v244
	.loc	1 171 20                        ; attention_bwd.py:171:20
	s_ashr_i32 s85, s84, 31
	.loc	1 171 51                        ; attention_bwd.py:171:51
	s_wait_alu depctr_va_vcc(0)
	v_add_co_ci_u32_e64 v130, null, s3, v245, vcc_lo
	.loc	1 171 20                        ; attention_bwd.py:171:20
	s_add_nc_u64 s[2:3], s[22:23], s[76:77]
	s_lshl_b64 s[72:73], s[84:85], 1
	.loc	1 171 51                        ; attention_bwd.py:171:51
	s_wait_alu depctr_sa_sdst(0)
	v_add_co_u32 v125, vcc_lo, s2, v244
	.loc	1 171 20                        ; attention_bwd.py:171:20
	s_ashr_i32 s63, s62, 31
	.loc	1 171 51                        ; attention_bwd.py:171:51
	s_wait_alu depctr_va_vcc(0)
	v_add_co_ci_u32_e64 v126, null, s3, v245, vcc_lo
	.loc	1 171 20                        ; attention_bwd.py:171:20
	s_add_nc_u64 s[2:3], s[22:23], s[72:73]
	;; [unrolled: 11-line block ×5, first 2 shown]
	v_writelane_b32 v250, s1, 22
	s_lshl_b64 s[94:95], s[60:61], 1
	.loc	1 171 51                        ; attention_bwd.py:171:51
	s_wait_alu depctr_sa_sdst(0)
	v_add_co_u32 v123, vcc_lo, s2, v244
	.loc	1 171 20                        ; attention_bwd.py:171:20
	s_ashr_i32 s41, s40, 31
	s_ashr_i32 s55, s54, 31
	.loc	1 171 51                        ; attention_bwd.py:171:51
	s_wait_alu depctr_va_vcc(0)
	v_add_co_ci_u32_e64 v124, null, s3, v245, vcc_lo
	.loc	1 171 20                        ; attention_bwd.py:171:20
	s_add_nc_u64 s[2:3], s[22:23], s[94:95]
	s_lshl_b64 s[26:27], s[40:41], 1
	s_wait_alu depctr_sa_sdst(0)
	s_lshl_b64 s[54:55], s[54:55], 1
	.loc	1 171 51                        ; attention_bwd.py:171:51
	v_add_co_u32 v15, vcc_lo, s2, v244
	.loc	1 171 20                        ; attention_bwd.py:171:20
	v_writelane_b32 v250, s26, 23
	s_ashr_i32 s57, s56, 31
	.loc	1 171 51                        ; attention_bwd.py:171:51
	s_wait_alu depctr_va_vcc(0)
	v_add_co_ci_u32_e64 v16, null, s3, v245, vcc_lo
	.loc	1 171 20                        ; attention_bwd.py:171:20
	s_wait_alu depctr_sa_sdst(0)
	s_add_nc_u64 s[2:3], s[22:23], s[54:55]
	s_lshl_b64 s[56:57], s[56:57], 1
	.loc	1 171 51                        ; attention_bwd.py:171:51
	s_wait_alu depctr_sa_sdst(0)
	v_add_co_u32 v17, vcc_lo, s2, v244
	.loc	1 171 20                        ; attention_bwd.py:171:20
	s_ashr_i32 s51, s50, 31
	v_writelane_b32 v250, s27, 24
	.loc	1 171 51                        ; attention_bwd.py:171:51
	s_wait_alu depctr_va_vcc(0)
	v_add_co_ci_u32_e64 v18, null, s3, v245, vcc_lo
	.loc	1 171 20                        ; attention_bwd.py:171:20
	s_add_nc_u64 s[2:3], s[22:23], s[56:57]
	s_ashr_i32 s43, s42, 31
	s_lshl_b64 s[50:51], s[50:51], 1
	.loc	1 171 51                        ; attention_bwd.py:171:51
	s_wait_alu depctr_sa_sdst(0)
	v_add_co_u32 v117, vcc_lo, s2, v244
	.loc	1 171 20                        ; attention_bwd.py:171:20
	s_lshl_b64 s[24:25], s[42:43], 1
	s_ashr_i32 s53, s52, 31
	.loc	1 171 51                        ; attention_bwd.py:171:51
	s_wait_alu depctr_va_vcc(0)
	v_add_co_ci_u32_e64 v118, null, s3, v245, vcc_lo
	.loc	1 171 20                        ; attention_bwd.py:171:20
	s_add_nc_u64 s[2:3], s[22:23], s[50:51]
	s_wait_alu depctr_sa_sdst(0)
	v_writelane_b32 v250, s24, 25
	s_lshl_b64 s[52:53], s[52:53], 1
	.loc	1 171 51                        ; attention_bwd.py:171:51
	v_add_co_u32 v119, vcc_lo, s2, v244
	.loc	1 171 20                        ; attention_bwd.py:171:20
	s_ashr_i32 s47, s46, 31
	.loc	1 171 51                        ; attention_bwd.py:171:51
	s_wait_alu depctr_va_vcc(0)
	v_add_co_ci_u32_e64 v120, null, s3, v245, vcc_lo
	.loc	1 171 20                        ; attention_bwd.py:171:20
	s_wait_alu depctr_sa_sdst(0)
	s_add_nc_u64 s[2:3], s[22:23], s[52:53]
	.loc	1 165 23 is_stmt 1              ; attention_bwd.py:165:23
	s_or_b32 s39, s67, 0x44
	.loc	1 171 20                        ; attention_bwd.py:171:20
	s_lshl_b64 s[46:47], s[46:47], 1
	v_writelane_b32 v250, s25, 26
	.loc	1 171 51 is_stmt 0              ; attention_bwd.py:171:51
	s_wait_alu depctr_sa_sdst(0)
	v_add_co_u32 v35, vcc_lo, s2, v244
	.loc	1 171 38                        ; attention_bwd.py:171:38
	s_mul_i32 s12, s10, s39
	.loc	1 171 20                        ; attention_bwd.py:171:20
	s_ashr_i32 s39, s38, 31
	s_ashr_i32 s49, s48, 31
	.loc	1 171 51                        ; attention_bwd.py:171:51
	s_wait_alu depctr_va_vcc(0)
	v_add_co_ci_u32_e64 v36, null, s3, v245, vcc_lo
	.loc	1 171 20                        ; attention_bwd.py:171:20
	s_add_nc_u64 s[2:3], s[22:23], s[46:47]
	s_lshl_b64 s[20:21], s[38:39], 1
	s_lshl_b64 s[96:97], s[48:49], 1
	.loc	1 171 51                        ; attention_bwd.py:171:51
	s_wait_alu depctr_sa_sdst(0)
	v_add_co_u32 v13, vcc_lo, s2, v244
	.loc	1 171 20                        ; attention_bwd.py:171:20
	v_writelane_b32 v250, s20, 27
	.loc	1 171 51                        ; attention_bwd.py:171:51
	s_wait_alu depctr_va_vcc(0)
	v_add_co_ci_u32_e64 v14, null, s3, v245, vcc_lo
	.loc	1 171 20                        ; attention_bwd.py:171:20
	s_add_nc_u64 s[2:3], s[22:23], s[96:97]
	s_ashr_i32 s45, s44, 31
	.loc	1 171 51                        ; attention_bwd.py:171:51
	s_wait_alu depctr_sa_sdst(0)
	v_add_co_u32 v113, vcc_lo, s2, v244
	.loc	1 171 20                        ; attention_bwd.py:171:20
	v_writelane_b32 v250, s21, 28
	.loc	1 171 51                        ; attention_bwd.py:171:51
	s_wait_alu depctr_va_vcc(0)
	v_add_co_ci_u32_e64 v114, null, s3, v245, vcc_lo
	.loc	1 171 20                        ; attention_bwd.py:171:20
	s_add_nc_u64 s[2:3], s[22:23], s[26:27]
	s_lshl_b64 s[16:17], s[44:45], 1
	.loc	1 171 51                        ; attention_bwd.py:171:51
	s_wait_alu depctr_sa_sdst(0)
	v_add_co_u32 v115, vcc_lo, s2, v244
	s_wait_alu depctr_va_vcc(0)
	v_add_co_ci_u32_e64 v116, null, s3, v245, vcc_lo
	.loc	1 171 20                        ; attention_bwd.py:171:20
	s_add_nc_u64 s[2:3], s[22:23], s[24:25]
	v_writelane_b32 v250, s16, 29
	.loc	1 171 51                        ; attention_bwd.py:171:51
	s_wait_alu depctr_sa_sdst(0)
	v_add_co_u32 v43, vcc_lo, s2, v244
	s_wait_alu depctr_va_vcc(0)
	v_add_co_ci_u32_e64 v44, null, s3, v245, vcc_lo
	.loc	1 171 20                        ; attention_bwd.py:171:20
	s_add_nc_u64 s[2:3], s[22:23], s[20:21]
	v_writelane_b32 v250, s17, 30
	.loc	1 171 51                        ; attention_bwd.py:171:51
	s_wait_alu depctr_sa_sdst(0)
	v_add_co_u32 v19, vcc_lo, s2, v244
	s_wait_alu depctr_va_vcc(0)
	v_add_co_ci_u32_e64 v20, null, s3, v245, vcc_lo
	.loc	1 171 20                        ; attention_bwd.py:171:20
	s_add_nc_u64 s[2:3], s[22:23], s[16:17]
	s_ashr_i32 s13, s12, 31
	.loc	1 171 51                        ; attention_bwd.py:171:51
	s_wait_alu depctr_sa_sdst(0)
	v_add_co_u32 v21, vcc_lo, s2, v244
	.loc	1 171 20                        ; attention_bwd.py:171:20
	v_writelane_b32 v250, s14, 31
	v_writelane_b32 v251, s15, 0
	s_lshl_b64 s[0:1], s[12:13], 1
	.loc	1 165 23 is_stmt 1              ; attention_bwd.py:165:23
	s_or_b32 s12, s67, 0x46
	.loc	1 171 51                        ; attention_bwd.py:171:51
	s_wait_alu depctr_va_vcc(0)
	v_add_co_ci_u32_e64 v22, null, s3, v245, vcc_lo
	.loc	1 171 20 is_stmt 0              ; attention_bwd.py:171:20
	s_add_nc_u64 s[2:3], s[22:23], s[14:15]
	.loc	1 171 38                        ; attention_bwd.py:171:38
	s_wait_alu depctr_sa_sdst(0)
	s_mul_i32 s12, s10, s12
	.loc	1 171 51                        ; attention_bwd.py:171:51
	v_add_co_u32 v23, vcc_lo, s2, v244
	.loc	1 171 20                        ; attention_bwd.py:171:20
	v_writelane_b32 v251, s0, 1
	.loc	1 171 51                        ; attention_bwd.py:171:51
	s_wait_alu depctr_va_vcc(0)
	v_add_co_ci_u32_e64 v24, null, s3, v245, vcc_lo
	.loc	1 171 20                        ; attention_bwd.py:171:20
	s_wait_alu depctr_sa_sdst(0)
	s_ashr_i32 s13, s12, 31
	s_add_nc_u64 s[2:3], s[22:23], s[0:1]
	s_wait_alu depctr_sa_sdst(0)
	s_lshl_b64 s[58:59], s[12:13], 1
	.loc	1 171 51                        ; attention_bwd.py:171:51
	v_add_co_u32 v27, vcc_lo, s2, v244
	s_wait_alu depctr_va_vcc(0)
	v_add_co_ci_u32_e64 v28, null, s3, v245, vcc_lo
	.loc	1 171 20                        ; attention_bwd.py:171:20
	s_add_nc_u64 s[2:3], s[22:23], s[58:59]
	v_writelane_b32 v251, s1, 2
	.loc	1 171 51                        ; attention_bwd.py:171:51
	s_wait_alu depctr_sa_sdst(0)
	v_add_co_u32 v25, vcc_lo, s2, v244
	.loc	1 165 23 is_stmt 1              ; attention_bwd.py:165:23
	s_or_b32 s2, s67, 0x48
	.loc	1 171 51                        ; attention_bwd.py:171:51
	s_wait_alu depctr_va_vcc(0)
	v_add_co_ci_u32_e64 v26, null, s3, v245, vcc_lo
	.loc	1 165 23                        ; attention_bwd.py:165:23
	s_or_b32 s3, s67, 0x4a
	.loc	1 171 38                        ; attention_bwd.py:171:38
	s_wait_alu depctr_sa_sdst(0)
	s_mul_i32 s2, s10, s2
	s_mul_i32 s12, s10, s3
	.loc	1 171 20 is_stmt 0              ; attention_bwd.py:171:20
	s_wait_alu depctr_sa_sdst(0)
	s_ashr_i32 s3, s2, 31
	s_ashr_i32 s13, s12, 31
	s_wait_alu depctr_sa_sdst(0)
	s_lshl_b64 s[60:61], s[2:3], 1
	s_lshl_b64 s[30:31], s[12:13], 1
	s_add_nc_u64 s[2:3], s[22:23], s[60:61]
	.loc	1 171 16                        ; attention_bwd.py:171:16
	v_lshlrev_b32_e32 v233, 1, v233
	.loc	1 171 51                        ; attention_bwd.py:171:51
	s_wait_alu depctr_sa_sdst(0)
	v_add_co_u32 v29, vcc_lo, s2, v244
	s_wait_alu depctr_va_vcc(0)
	v_add_co_ci_u32_e64 v30, null, s3, v245, vcc_lo
	.loc	1 171 20                        ; attention_bwd.py:171:20
	s_add_nc_u64 s[2:3], s[22:23], s[30:31]
	.loc	1 171 16                        ; attention_bwd.py:171:16
	global_load_u16 v236, v[99:100], off
	.loc	1 171 51                        ; attention_bwd.py:171:51
	s_wait_alu depctr_sa_sdst(0)
	v_add_co_u32 v31, vcc_lo, s2, v244
	.loc	1 165 23 is_stmt 1              ; attention_bwd.py:165:23
	s_or_b32 s2, s67, 0x4c
	.loc	1 171 51                        ; attention_bwd.py:171:51
	s_wait_alu depctr_va_vcc(0)
	v_add_co_ci_u32_e64 v32, null, s3, v245, vcc_lo
	.loc	1 171 38 is_stmt 0              ; attention_bwd.py:171:38
	s_wait_alu depctr_sa_sdst(0)
	s_mul_i32 s2, s10, s2
	.loc	1 171 16                        ; attention_bwd.py:171:16
	s_clause 0x1
	global_load_u16 v235, v[89:90], off
	global_load_u16 v234, v[91:92], off
	.loc	1 171 20                        ; attention_bwd.py:171:20
	s_wait_alu depctr_sa_sdst(0)
	s_ashr_i32 s3, s2, 31
	.loc	1 171 16                        ; attention_bwd.py:171:16
	s_clause 0x1
	global_load_u16 v237, v[93:94], off
	global_load_u16 v240, v[111:112], off
	.loc	1 171 20                        ; attention_bwd.py:171:20
	s_wait_alu depctr_sa_sdst(0)
	s_lshl_b64 s[78:79], s[2:3], 1
	.loc	1 171 16                        ; attention_bwd.py:171:16
	s_clause 0x1
	global_load_u16 v239, v[97:98], off
	global_load_u16 v238, v[105:106], off
	.loc	1 171 20                        ; attention_bwd.py:171:20
	s_add_nc_u64 s[2:3], s[22:23], s[78:79]
	.loc	1 171 16                        ; attention_bwd.py:171:16
	s_clause 0x1
	global_load_u16 v112, v[101:102], off
	global_load_u16 v111, v[107:108], off
	.loc	1 171 51                        ; attention_bwd.py:171:51
	s_wait_alu depctr_sa_sdst(0)
	v_add_co_u32 v33, vcc_lo, s2, v244
	.loc	1 165 23 is_stmt 1              ; attention_bwd.py:165:23
	s_or_b32 s2, s67, 0x4e
	.loc	1 171 51                        ; attention_bwd.py:171:51
	s_wait_alu depctr_va_vcc(0)
	v_add_co_ci_u32_e64 v34, null, s3, v245, vcc_lo
	.loc	1 171 38 is_stmt 0              ; attention_bwd.py:171:38
	s_wait_alu depctr_sa_sdst(0)
	s_mul_i32 s2, s10, s2
	.loc	1 171 16                        ; attention_bwd.py:171:16
	s_clause 0x1
	global_load_u16 v241, v[95:96], off
	global_load_u16 v129, v[129:130], off
	.loc	1 171 20                        ; attention_bwd.py:171:20
	s_wait_alu depctr_sa_sdst(0)
	s_ashr_i32 s3, s2, 31
	.loc	1 171 16                        ; attention_bwd.py:171:16
	s_clause 0x1
	global_load_u16 v243, v[103:104], off
	global_load_u16 v242, v[109:110], off
	.loc	1 171 20                        ; attention_bwd.py:171:20
	s_wait_alu depctr_sa_sdst(0)
	s_lshl_b64 s[80:81], s[2:3], 1
	.loc	1 171 16                        ; attention_bwd.py:171:16
	s_clause 0x1
	global_load_u16 v113, v[113:114], off
	global_load_u16 v114, v[115:116], off
	.loc	1 171 20                        ; attention_bwd.py:171:20
	s_add_nc_u64 s[2:3], s[22:23], s[80:81]
	.loc	1 171 16                        ; attention_bwd.py:171:16
	s_clause 0x1
	global_load_u16 v115, v[35:36], off
	global_load_u16 v43, v[43:44], off
	.loc	1 171 51                        ; attention_bwd.py:171:51
	s_wait_alu depctr_sa_sdst(0)
	v_add_co_u32 v37, vcc_lo, s2, v244
	.loc	1 165 23 is_stmt 1              ; attention_bwd.py:165:23
	s_or_b32 s2, s67, 0x50
	.loc	1 171 51                        ; attention_bwd.py:171:51
	s_wait_alu depctr_va_vcc(0)
	v_add_co_ci_u32_e64 v38, null, s3, v245, vcc_lo
	.loc	1 171 38 is_stmt 0              ; attention_bwd.py:171:38
	s_wait_alu depctr_sa_sdst(0)
	s_mul_i32 s2, s10, s2
	.loc	1 171 16                        ; attention_bwd.py:171:16
	s_clause 0x1
	global_load_u16 v44, v[5:6], off
	global_load_u16 v116, v[3:4], off
	.loc	1 171 20                        ; attention_bwd.py:171:20
	s_wait_alu depctr_sa_sdst(0)
	s_ashr_i32 s3, s2, 31
.Ltmp2:
	.loc	1 41 36 is_stmt 1               ; attention_bwd.py:41:36 @[ attention_bwd.py:200:26 ]
	v_mul_lo_u32 v5, s10, v226
.Ltmp3:
	.loc	1 171 20                        ; attention_bwd.py:171:20
	s_wait_alu depctr_sa_sdst(0)
	s_lshl_b64 s[102:103], s[2:3], 1
	.loc	1 171 16 is_stmt 0              ; attention_bwd.py:171:16
	s_clause 0x1
	global_load_u16 v9, v[9:10], off
	global_load_u16 v10, v[7:8], off
	.loc	1 171 20                        ; attention_bwd.py:171:20
	s_add_nc_u64 s[2:3], s[22:23], s[102:103]
	.loc	1 171 16                        ; attention_bwd.py:171:16
	s_clause 0x2
	global_load_u16 v15, v[15:16], off
	global_load_u16 v16, v[17:18], off
	;; [unrolled: 1-line block ×3, first 2 shown]
	.loc	1 171 51                        ; attention_bwd.py:171:51
	s_wait_alu depctr_sa_sdst(0)
	v_add_co_u32 v39, vcc_lo, s2, v244
	.loc	1 165 23 is_stmt 1              ; attention_bwd.py:165:23
	s_or_b32 s2, s67, 0x52
	.loc	1 171 51                        ; attention_bwd.py:171:51
	s_wait_alu depctr_va_vcc(0)
	v_add_co_ci_u32_e64 v40, null, s3, v245, vcc_lo
	.loc	1 171 38 is_stmt 0              ; attention_bwd.py:171:38
	s_wait_alu depctr_sa_sdst(0)
	s_mul_i32 s2, s10, s2
.Ltmp4:
	.loc	1 41 18 is_stmt 1               ; attention_bwd.py:41:18 @[ attention_bwd.py:200:26 ]
	v_ashrrev_i32_e32 v6, 31, v5
.Ltmp5:
	.loc	1 171 20                        ; attention_bwd.py:171:20
	s_wait_alu depctr_sa_sdst(0)
	s_ashr_i32 s3, s2, 31
	.loc	1 171 16 is_stmt 0              ; attention_bwd.py:171:16
	s_clause 0x1
	global_load_u16 v126, v[125:126], off
	global_load_u16 v125, v[127:128], off
	.loc	1 171 20                        ; attention_bwd.py:171:20
	s_wait_alu depctr_sa_sdst(0)
	s_lshl_b64 s[20:21], s[2:3], 1
	.loc	1 171 16                        ; attention_bwd.py:171:16
	s_clause 0x1
	global_load_u16 v121, v[121:122], off
	global_load_u16 v122, v[123:124], off
	.loc	1 171 20                        ; attention_bwd.py:171:20
	s_wait_alu depctr_sa_sdst(0)
	s_add_nc_u64 s[2:3], s[22:23], s[20:21]
.Ltmp6:
	.loc	1 41 18 is_stmt 1               ; attention_bwd.py:41:18 @[ attention_bwd.py:200:26 ]
	v_lshlrev_b64_e32 v[17:18], 1, v[5:6]
.Ltmp7:
	.loc	1 171 51                        ; attention_bwd.py:171:51
	s_wait_alu depctr_sa_sdst(0)
	v_add_co_u32 v41, vcc_lo, s2, v244
	.loc	1 165 23                        ; attention_bwd.py:165:23
	s_or_b32 s2, s67, 0x54
	.loc	1 171 51                        ; attention_bwd.py:171:51
	s_wait_alu depctr_va_vcc(0)
	v_add_co_ci_u32_e64 v42, null, s3, v245, vcc_lo
	.loc	1 171 38 is_stmt 0              ; attention_bwd.py:171:38
	s_wait_alu depctr_sa_sdst(0)
	s_mul_i32 s2, s10, s2
	scratch_store_b64 off, v[17:18], off offset:1364 ; 8-byte Folded Spill
	.loc	1 171 20                        ; attention_bwd.py:171:20
	s_wait_alu depctr_sa_sdst(0)
	s_ashr_i32 s3, s2, 31
	.loc	1 171 16                        ; attention_bwd.py:171:16
	s_clause 0x1
	global_load_u16 v117, v[117:118], off
	global_load_u16 v118, v[119:120], off
	.loc	1 171 20                        ; attention_bwd.py:171:20
	s_wait_alu depctr_sa_sdst(0)
	s_lshl_b64 s[12:13], s[2:3], 1
	s_wait_alu depctr_sa_sdst(0)
	s_add_nc_u64 s[2:3], s[22:23], s[12:13]
	.loc	1 171 51                        ; attention_bwd.py:171:51
	s_wait_alu depctr_sa_sdst(0)
	v_add_co_u32 v45, vcc_lo, s2, v244
	.loc	1 165 23 is_stmt 1              ; attention_bwd.py:165:23
	s_or_b32 s2, s67, 0x56
	.loc	1 171 51                        ; attention_bwd.py:171:51
	s_wait_alu depctr_va_vcc(0)
	v_add_co_ci_u32_e64 v46, null, s3, v245, vcc_lo
	.loc	1 171 38 is_stmt 0              ; attention_bwd.py:171:38
	s_wait_alu depctr_sa_sdst(0)
	s_mul_i32 s2, s10, s2
	.loc	1 171 20                        ; attention_bwd.py:171:20
	s_wait_alu depctr_sa_sdst(0)
	s_ashr_i32 s3, s2, 31
	s_wait_alu depctr_sa_sdst(0)
	s_lshl_b64 s[84:85], s[2:3], 1
	s_delay_alu instid0(SALU_CYCLE_1)
	s_add_nc_u64 s[2:3], s[22:23], s[84:85]
	.loc	1 171 51                        ; attention_bwd.py:171:51
	s_wait_alu depctr_sa_sdst(0)
	v_add_co_u32 v47, vcc_lo, s2, v244
	.loc	1 165 23 is_stmt 1              ; attention_bwd.py:165:23
	s_or_b32 s2, s67, 0x58
	.loc	1 171 51                        ; attention_bwd.py:171:51
	s_wait_alu depctr_va_vcc(0)
	v_add_co_ci_u32_e64 v48, null, s3, v245, vcc_lo
	.loc	1 171 38 is_stmt 0              ; attention_bwd.py:171:38
	s_wait_alu depctr_sa_sdst(0)
	s_mul_i32 s2, s10, s2
	.loc	1 171 20                        ; attention_bwd.py:171:20
	s_wait_alu depctr_sa_sdst(0)
	s_ashr_i32 s3, s2, 31
	s_wait_alu depctr_sa_sdst(0)
	s_lshl_b64 s[86:87], s[2:3], 1
	s_delay_alu instid0(SALU_CYCLE_1)
	s_add_nc_u64 s[2:3], s[22:23], s[86:87]
	.loc	1 171 51                        ; attention_bwd.py:171:51
	s_wait_alu depctr_sa_sdst(0)
	v_add_co_u32 v49, vcc_lo, s2, v244
	.loc	1 165 23 is_stmt 1              ; attention_bwd.py:165:23
	s_or_b32 s2, s67, 0x5a
	.loc	1 171 51                        ; attention_bwd.py:171:51
	s_wait_alu depctr_va_vcc(0)
	v_add_co_ci_u32_e64 v50, null, s3, v245, vcc_lo
	.loc	1 171 38 is_stmt 0              ; attention_bwd.py:171:38
	s_wait_alu depctr_sa_sdst(0)
	s_mul_i32 s2, s10, s2
	.loc	1 171 20                        ; attention_bwd.py:171:20
	s_wait_alu depctr_sa_sdst(0)
	s_ashr_i32 s3, s2, 31
	s_wait_alu depctr_sa_sdst(0)
	s_lshl_b64 s[24:25], s[2:3], 1
	s_wait_alu depctr_sa_sdst(0)
	s_add_nc_u64 s[2:3], s[22:23], s[24:25]
	.loc	1 171 51                        ; attention_bwd.py:171:51
	s_wait_alu depctr_sa_sdst(0)
	v_add_co_u32 v51, vcc_lo, s2, v244
	.loc	1 165 23 is_stmt 1              ; attention_bwd.py:165:23
	s_or_b32 s2, s67, 0x5c
	.loc	1 171 51                        ; attention_bwd.py:171:51
	s_wait_alu depctr_va_vcc(0)
	v_add_co_ci_u32_e64 v52, null, s3, v245, vcc_lo
	.loc	1 171 38 is_stmt 0              ; attention_bwd.py:171:38
	s_wait_alu depctr_sa_sdst(0)
	s_mul_i32 s2, s10, s2
	.loc	1 171 20                        ; attention_bwd.py:171:20
	s_wait_alu depctr_sa_sdst(0)
	s_ashr_i32 s3, s2, 31
	s_wait_alu depctr_sa_sdst(0)
	s_lshl_b64 s[14:15], s[2:3], 1
	s_wait_alu depctr_sa_sdst(0)
	s_add_nc_u64 s[2:3], s[22:23], s[14:15]
	.loc	1 171 51                        ; attention_bwd.py:171:51
	s_wait_alu depctr_sa_sdst(0)
	v_add_co_u32 v53, vcc_lo, s2, v244
	.loc	1 165 23 is_stmt 1              ; attention_bwd.py:165:23
	s_or_b32 s2, s67, 0x5e
	.loc	1 171 51                        ; attention_bwd.py:171:51
	s_wait_alu depctr_va_vcc(0)
	v_add_co_ci_u32_e64 v54, null, s3, v245, vcc_lo
	.loc	1 171 38 is_stmt 0              ; attention_bwd.py:171:38
	s_wait_alu depctr_sa_sdst(0)
	s_mul_i32 s2, s10, s2
	.loc	1 171 20                        ; attention_bwd.py:171:20
	s_wait_alu depctr_sa_sdst(0)
	s_ashr_i32 s3, s2, 31
	s_wait_alu depctr_sa_sdst(0)
	s_lshl_b64 s[16:17], s[2:3], 1
	s_wait_alu depctr_sa_sdst(0)
	s_add_nc_u64 s[2:3], s[22:23], s[16:17]
	.loc	1 171 51                        ; attention_bwd.py:171:51
	s_wait_alu depctr_sa_sdst(0)
	v_add_co_u32 v55, vcc_lo, s2, v244
	.loc	1 165 23 is_stmt 1              ; attention_bwd.py:165:23
	s_or_b32 s2, s67, 0x60
	.loc	1 171 51                        ; attention_bwd.py:171:51
	s_wait_alu depctr_va_vcc(0)
	v_add_co_ci_u32_e64 v56, null, s3, v245, vcc_lo
	.loc	1 171 38 is_stmt 0              ; attention_bwd.py:171:38
	s_wait_alu depctr_sa_sdst(0)
	s_mul_i32 s2, s10, s2
	.loc	1 171 20                        ; attention_bwd.py:171:20
	s_wait_alu depctr_sa_sdst(0)
	s_ashr_i32 s3, s2, 31
	s_wait_alu depctr_sa_sdst(0)
	s_lshl_b64 s[26:27], s[2:3], 1
	s_wait_alu depctr_sa_sdst(0)
	s_add_nc_u64 s[2:3], s[22:23], s[26:27]
	.loc	1 171 51                        ; attention_bwd.py:171:51
	s_wait_alu depctr_sa_sdst(0)
	v_add_co_u32 v57, vcc_lo, s2, v244
	.loc	1 165 23 is_stmt 1              ; attention_bwd.py:165:23
	s_or_b32 s2, s67, 0x62
	.loc	1 171 51                        ; attention_bwd.py:171:51
	s_wait_alu depctr_va_vcc(0)
	v_add_co_ci_u32_e64 v58, null, s3, v245, vcc_lo
	.loc	1 171 38 is_stmt 0              ; attention_bwd.py:171:38
	s_wait_alu depctr_sa_sdst(0)
	s_mul_i32 s2, s10, s2
	.loc	1 171 20                        ; attention_bwd.py:171:20
	s_wait_alu depctr_sa_sdst(0)
	s_ashr_i32 s3, s2, 31
	s_wait_alu depctr_sa_sdst(0)
	s_lshl_b64 s[28:29], s[2:3], 1
	s_wait_alu depctr_sa_sdst(0)
	s_add_nc_u64 s[2:3], s[22:23], s[28:29]
	.loc	1 171 51                        ; attention_bwd.py:171:51
	s_wait_alu depctr_sa_sdst(0)
	v_add_co_u32 v59, vcc_lo, s2, v244
	.loc	1 165 23 is_stmt 1              ; attention_bwd.py:165:23
	s_or_b32 s2, s67, 0x64
	.loc	1 171 51                        ; attention_bwd.py:171:51
	s_wait_alu depctr_va_vcc(0)
	v_add_co_ci_u32_e64 v60, null, s3, v245, vcc_lo
	.loc	1 171 38 is_stmt 0              ; attention_bwd.py:171:38
	s_wait_alu depctr_sa_sdst(0)
	s_mul_i32 s2, s10, s2
	.loc	1 171 20                        ; attention_bwd.py:171:20
	s_wait_alu depctr_sa_sdst(0)
	s_ashr_i32 s3, s2, 31
	s_wait_alu depctr_sa_sdst(0)
	s_lshl_b64 s[36:37], s[2:3], 1
	s_delay_alu instid0(SALU_CYCLE_1)
	s_add_nc_u64 s[2:3], s[22:23], s[36:37]
	.loc	1 171 51                        ; attention_bwd.py:171:51
	s_wait_alu depctr_sa_sdst(0)
	v_add_co_u32 v61, vcc_lo, s2, v244
	.loc	1 165 23 is_stmt 1              ; attention_bwd.py:165:23
	s_or_b32 s2, s67, 0x66
	.loc	1 171 51                        ; attention_bwd.py:171:51
	s_wait_alu depctr_va_vcc(0)
	v_add_co_ci_u32_e64 v62, null, s3, v245, vcc_lo
	.loc	1 171 38 is_stmt 0              ; attention_bwd.py:171:38
	s_wait_alu depctr_sa_sdst(0)
	s_mul_i32 s2, s10, s2
	.loc	1 171 20                        ; attention_bwd.py:171:20
	s_wait_alu depctr_sa_sdst(0)
	s_ashr_i32 s3, s2, 31
	s_wait_alu depctr_sa_sdst(0)
	s_lshl_b64 s[38:39], s[2:3], 1
	s_delay_alu instid0(SALU_CYCLE_1)
	;; [unrolled: 18-line block ×6, first 2 shown]
	s_add_nc_u64 s[2:3], s[22:23], s[48:49]
	.loc	1 171 51                        ; attention_bwd.py:171:51
	s_wait_alu depctr_sa_sdst(0)
	v_add_co_u32 v71, vcc_lo, s2, v244
	.loc	1 165 23 is_stmt 1              ; attention_bwd.py:165:23
	s_or_b32 s2, s67, 0x70
	.loc	1 171 51                        ; attention_bwd.py:171:51
	s_wait_alu depctr_va_vcc(0)
	v_add_co_ci_u32_e64 v72, null, s3, v245, vcc_lo
	.loc	1 171 38 is_stmt 0              ; attention_bwd.py:171:38
	s_wait_alu depctr_sa_sdst(0)
	s_mul_i32 s2, s10, s2
	.loc	1 171 20                        ; attention_bwd.py:171:20
	s_wait_alu depctr_sa_sdst(0)
	s_ashr_i32 s3, s2, 31
	s_wait_alu depctr_sa_sdst(0)
	s_lshl_b64 s[0:1], s[2:3], 1
	s_wait_alu depctr_sa_sdst(0)
	v_writelane_b32 v251, s0, 3
	s_add_nc_u64 s[2:3], s[22:23], s[0:1]
	.loc	1 171 51                        ; attention_bwd.py:171:51
	s_wait_alu depctr_sa_sdst(0)
	v_add_co_u32 v73, vcc_lo, s2, v244
	.loc	1 165 23 is_stmt 1              ; attention_bwd.py:165:23
	s_or_b32 s2, s67, 0x72
	.loc	1 171 20                        ; attention_bwd.py:171:20
	v_writelane_b32 v251, s1, 4
	.loc	1 171 38 is_stmt 0              ; attention_bwd.py:171:38
	s_wait_alu depctr_sa_sdst(0)
	s_mul_i32 s2, s10, s2
	.loc	1 171 51                        ; attention_bwd.py:171:51
	s_wait_alu depctr_va_vcc(0)
	v_add_co_ci_u32_e64 v74, null, s3, v245, vcc_lo
	.loc	1 171 20                        ; attention_bwd.py:171:20
	s_wait_alu depctr_sa_sdst(0)
	s_ashr_i32 s3, s2, 31
	s_wait_alu depctr_sa_sdst(0)
	s_lshl_b64 s[0:1], s[2:3], 1
	s_wait_alu depctr_sa_sdst(0)
	v_writelane_b32 v251, s0, 5
	s_add_nc_u64 s[2:3], s[22:23], s[0:1]
	.loc	1 171 51                        ; attention_bwd.py:171:51
	s_wait_alu depctr_sa_sdst(0)
	v_add_co_u32 v75, vcc_lo, s2, v244
	.loc	1 165 23 is_stmt 1              ; attention_bwd.py:165:23
	s_or_b32 s2, s67, 0x74
	.loc	1 171 20                        ; attention_bwd.py:171:20
	v_writelane_b32 v251, s1, 6
	.loc	1 171 38 is_stmt 0              ; attention_bwd.py:171:38
	s_wait_alu depctr_sa_sdst(0)
	s_mul_i32 s2, s10, s2
	.loc	1 171 51                        ; attention_bwd.py:171:51
	s_wait_alu depctr_va_vcc(0)
	v_add_co_ci_u32_e64 v76, null, s3, v245, vcc_lo
	;; [unrolled: 21-line block ×6, first 2 shown]
	.loc	1 171 20                        ; attention_bwd.py:171:20
	s_wait_alu depctr_sa_sdst(0)
	s_ashr_i32 s3, s2, 31
	s_wait_alu depctr_sa_sdst(0)
	s_lshl_b64 s[0:1], s[2:3], 1
	s_wait_alu depctr_sa_sdst(0)
	v_writelane_b32 v251, s0, 15
	s_add_nc_u64 s[2:3], s[22:23], s[0:1]
	.loc	1 171 51                        ; attention_bwd.py:171:51
	s_wait_alu depctr_sa_sdst(0)
	v_add_co_u32 v85, vcc_lo, s2, v244
	.loc	1 171 20                        ; attention_bwd.py:171:20
	v_writelane_b32 v251, s1, 16
	.loc	1 165 23 is_stmt 1              ; attention_bwd.py:165:23
	s_or_b32 s2, s67, 0x7e
	.loc	1 171 51                        ; attention_bwd.py:171:51
	s_wait_alu depctr_va_vcc(0)
	v_add_co_ci_u32_e64 v86, null, s3, v245, vcc_lo
	.loc	1 171 38 is_stmt 0              ; attention_bwd.py:171:38
	s_wait_alu depctr_sa_sdst(0)
	s_mul_i32 s2, s10, s2
	v_writelane_b32 v251, s22, 17
	.loc	1 171 20                        ; attention_bwd.py:171:20
	s_wait_alu depctr_sa_sdst(0)
	s_ashr_i32 s3, s2, 31
	.loc	1 172 20 is_stmt 1              ; attention_bwd.py:172:20
	v_readlane_b32 s0, v250, 13
	.loc	1 171 20                        ; attention_bwd.py:171:20
	s_wait_alu depctr_sa_sdst(0)
	s_lshl_b64 s[66:67], s[2:3], 1
	.loc	1 172 20                        ; attention_bwd.py:172:20
	v_readlane_b32 s1, v250, 14
	v_writelane_b32 v251, s23, 18
	.loc	1 171 20                        ; attention_bwd.py:171:20
	s_add_nc_u64 s[2:3], s[22:23], s[66:67]
	s_mov_b64 s[22:23], s[4:5]
	.loc	1 171 51 is_stmt 0              ; attention_bwd.py:171:51
	s_wait_alu depctr_sa_sdst(0)
	v_add_co_u32 v87, vcc_lo, s2, v244
	s_wait_kmcnt 0x0
	v_writelane_b32 v251, s6, 19
	s_wait_alu depctr_va_vcc(0)
	v_add_co_ci_u32_e64 v88, null, s3, v245, vcc_lo
	v_writelane_b32 v251, s7, 20
	.loc	1 150 9 is_stmt 1               ; attention_bwd.py:150:9
	s_add_nc_u64 s[6:7], s[6:7], s[8:9]
	v_writelane_b32 v251, s92, 21
	.loc	1 172 20                        ; attention_bwd.py:172:20
	s_wait_alu depctr_sa_sdst(0)
	s_add_nc_u64 s[2:3], s[6:7], s[92:93]
	.loc	1 172 51 is_stmt 0              ; attention_bwd.py:172:51
	s_wait_alu depctr_sa_sdst(0)
	v_add_co_u32 v131, vcc_lo, s2, v244
	v_writelane_b32 v251, s93, 22
	s_wait_alu depctr_va_vcc(0)
	v_add_co_ci_u32_e64 v132, null, s3, v245, vcc_lo
	v_writelane_b32 v251, s90, 23
	.loc	1 172 20                        ; attention_bwd.py:172:20
	s_add_nc_u64 s[2:3], s[6:7], s[90:91]
	.loc	1 172 51                        ; attention_bwd.py:172:51
	s_wait_alu depctr_sa_sdst(0)
	v_add_co_u32 v133, vcc_lo, s2, v244
	v_writelane_b32 v251, s91, 24
	s_wait_alu depctr_va_vcc(0)
	v_add_co_ci_u32_e64 v134, null, s3, v245, vcc_lo
	.loc	1 172 20                        ; attention_bwd.py:172:20
	v_readlane_b32 s2, v250, 11
	v_readlane_b32 s3, v250, 12
	v_writelane_b32 v251, s98, 25
	s_add_nc_u64 s[2:3], s[6:7], s[2:3]
	v_writelane_b32 v251, s99, 26
	.loc	1 172 51                        ; attention_bwd.py:172:51
	s_wait_alu depctr_sa_sdst(0)
	v_add_co_u32 v135, vcc_lo, s2, v244
	s_wait_alu depctr_va_vcc(0)
	v_add_co_ci_u32_e64 v136, null, s3, v245, vcc_lo
	v_writelane_b32 v251, s100, 27
	.loc	1 172 20                        ; attention_bwd.py:172:20
	s_add_nc_u64 s[2:3], s[6:7], s[0:1]
	v_readlane_b32 s0, v250, 15
	v_readlane_b32 s1, v250, 16
	.loc	1 172 51                        ; attention_bwd.py:172:51
	s_wait_alu depctr_sa_sdst(0)
	v_add_co_u32 v137, vcc_lo, s2, v244
	v_writelane_b32 v251, s101, 28
	s_wait_alu depctr_va_vcc(0)
	v_add_co_ci_u32_e64 v138, null, s3, v245, vcc_lo
	.loc	1 172 20                        ; attention_bwd.py:172:20
	s_add_nc_u64 s[2:3], s[6:7], s[0:1]
	v_readlane_b32 s0, v250, 17
	v_writelane_b32 v251, s18, 29
	.loc	1 172 51                        ; attention_bwd.py:172:51
	s_wait_alu depctr_sa_sdst(0)
	v_add_co_u32 v139, vcc_lo, s2, v244
	.loc	1 172 20                        ; attention_bwd.py:172:20
	v_readlane_b32 s1, v250, 18
	.loc	1 172 51                        ; attention_bwd.py:172:51
	s_wait_alu depctr_va_vcc(0)
	v_add_co_ci_u32_e64 v140, null, s3, v245, vcc_lo
	v_writelane_b32 v251, s19, 30
	.loc	1 172 20                        ; attention_bwd.py:172:20
	s_add_nc_u64 s[2:3], s[6:7], s[98:99]
	.loc	1 172 51                        ; attention_bwd.py:172:51
	s_wait_alu depctr_sa_sdst(0)
	v_add_co_u32 v141, vcc_lo, s2, v244
	v_writelane_b32 v251, s34, 31
	v_writelane_b32 v253, s35, 0
	s_wait_alu depctr_va_vcc(0)
	v_add_co_ci_u32_e64 v142, null, s3, v245, vcc_lo
	.loc	1 172 20                        ; attention_bwd.py:172:20
	s_add_nc_u64 s[2:3], s[6:7], s[0:1]
	v_readlane_b32 s0, v250, 19
	v_writelane_b32 v253, s68, 1
	.loc	1 172 51                        ; attention_bwd.py:172:51
	s_wait_alu depctr_sa_sdst(0)
	v_add_co_u32 v143, vcc_lo, s2, v244
	s_wait_alu depctr_va_vcc(0)
	v_add_co_ci_u32_e64 v144, null, s3, v245, vcc_lo
	v_writelane_b32 v253, s69, 2
	.loc	1 172 20                        ; attention_bwd.py:172:20
	s_add_nc_u64 s[2:3], s[6:7], s[100:101]
	v_readlane_b32 s1, v250, 20
	.loc	1 172 51                        ; attention_bwd.py:172:51
	s_wait_alu depctr_sa_sdst(0)
	v_add_co_u32 v145, vcc_lo, s2, v244
	v_writelane_b32 v253, s70, 3
	s_wait_alu depctr_va_vcc(0)
	v_add_co_ci_u32_e64 v146, null, s3, v245, vcc_lo
	.loc	1 172 20                        ; attention_bwd.py:172:20
	s_add_nc_u64 s[2:3], s[6:7], s[4:5]
	v_writelane_b32 v253, s71, 4
	.loc	1 172 51                        ; attention_bwd.py:172:51
	s_wait_alu depctr_sa_sdst(0)
	v_add_co_u32 v147, vcc_lo, s2, v244
	s_wait_alu depctr_va_vcc(0)
	v_add_co_ci_u32_e64 v148, null, s3, v245, vcc_lo
	v_writelane_b32 v253, s88, 5
	.loc	1 172 20                        ; attention_bwd.py:172:20
	s_add_nc_u64 s[2:3], s[6:7], s[0:1]
	v_readlane_b32 s0, v250, 21
	v_readlane_b32 s1, v250, 22
	.loc	1 172 51                        ; attention_bwd.py:172:51
	s_wait_alu depctr_sa_sdst(0)
	v_add_co_u32 v149, vcc_lo, s2, v244
	v_writelane_b32 v253, s89, 6
	s_wait_alu depctr_va_vcc(0)
	v_add_co_ci_u32_e64 v150, null, s3, v245, vcc_lo
	.loc	1 172 20                        ; attention_bwd.py:172:20
	s_add_nc_u64 s[2:3], s[6:7], s[0:1]
	v_readlane_b32 s0, v250, 23
	v_writelane_b32 v253, s74, 7
	.loc	1 172 51                        ; attention_bwd.py:172:51
	s_wait_alu depctr_sa_sdst(0)
	v_add_co_u32 v151, vcc_lo, s2, v244
	s_wait_alu depctr_va_vcc(0)
	v_add_co_ci_u32_e64 v152, null, s3, v245, vcc_lo
	v_writelane_b32 v253, s75, 8
	.loc	1 172 20                        ; attention_bwd.py:172:20
	s_add_nc_u64 s[2:3], s[6:7], s[18:19]
	v_readlane_b32 s1, v250, 24
	.loc	1 172 51                        ; attention_bwd.py:172:51
	s_wait_alu depctr_sa_sdst(0)
	v_add_co_u32 v153, vcc_lo, s2, v244
	v_writelane_b32 v253, s76, 9
	s_wait_alu depctr_va_vcc(0)
	v_add_co_ci_u32_e64 v154, null, s3, v245, vcc_lo
	.loc	1 172 20                        ; attention_bwd.py:172:20
	s_add_nc_u64 s[2:3], s[6:7], s[34:35]
	v_writelane_b32 v253, s77, 10
	.loc	1 172 51                        ; attention_bwd.py:172:51
	s_wait_alu depctr_sa_sdst(0)
	v_add_co_u32 v155, vcc_lo, s2, v244
	s_wait_alu depctr_va_vcc(0)
	v_add_co_ci_u32_e64 v156, null, s3, v245, vcc_lo
	v_writelane_b32 v253, s72, 11
	.loc	1 172 20                        ; attention_bwd.py:172:20
	s_add_nc_u64 s[2:3], s[6:7], s[68:69]
	.loc	1 172 51                        ; attention_bwd.py:172:51
	s_wait_alu depctr_sa_sdst(0)
	v_add_co_u32 v157, vcc_lo, s2, v244
	v_writelane_b32 v253, s73, 12
	s_wait_alu depctr_va_vcc(0)
	v_add_co_ci_u32_e64 v158, null, s3, v245, vcc_lo
	.loc	1 172 20                        ; attention_bwd.py:172:20
	s_add_nc_u64 s[2:3], s[6:7], s[70:71]
	v_writelane_b32 v253, s62, 13
	.loc	1 172 51                        ; attention_bwd.py:172:51
	s_wait_alu depctr_sa_sdst(0)
	v_add_co_u32 v159, vcc_lo, s2, v244
	s_wait_alu depctr_va_vcc(0)
	v_add_co_ci_u32_e64 v160, null, s3, v245, vcc_lo
	v_writelane_b32 v253, s63, 14
	.loc	1 172 20                        ; attention_bwd.py:172:20
	s_add_nc_u64 s[2:3], s[6:7], s[88:89]
	;; [unrolled: 17-line block ×7, first 2 shown]
	.loc	1 172 51                        ; attention_bwd.py:172:51
	s_wait_alu depctr_sa_sdst(0)
	v_add_co_u32 v181, vcc_lo, s2, v244
	v_writelane_b32 v253, s47, 30
	s_wait_alu depctr_va_vcc(0)
	v_add_co_ci_u32_e64 v182, null, s3, v245, vcc_lo
	.loc	1 172 20                        ; attention_bwd.py:172:20
	s_add_nc_u64 s[2:3], s[6:7], s[52:53]
	v_writelane_b32 v253, s96, 31
	v_writelane_b32 v254, s97, 0
	.loc	1 172 51                        ; attention_bwd.py:172:51
	s_wait_alu depctr_sa_sdst(0)
	v_add_co_u32 v183, vcc_lo, s2, v244
	s_wait_alu depctr_va_vcc(0)
	v_add_co_ci_u32_e64 v184, null, s3, v245, vcc_lo
	v_writelane_b32 v254, s58, 1
	.loc	1 172 20                        ; attention_bwd.py:172:20
	s_add_nc_u64 s[2:3], s[6:7], s[46:47]
	.loc	1 172 51                        ; attention_bwd.py:172:51
	s_wait_alu depctr_sa_sdst(0)
	v_add_co_u32 v185, vcc_lo, s2, v244
	v_writelane_b32 v254, s59, 2
	s_wait_alu depctr_va_vcc(0)
	v_add_co_ci_u32_e64 v186, null, s3, v245, vcc_lo
	.loc	1 172 20                        ; attention_bwd.py:172:20
	s_add_nc_u64 s[2:3], s[6:7], s[96:97]
	v_writelane_b32 v254, s60, 3
	.loc	1 172 51                        ; attention_bwd.py:172:51
	s_wait_alu depctr_sa_sdst(0)
	v_add_co_u32 v187, vcc_lo, s2, v244
	s_wait_alu depctr_va_vcc(0)
	v_add_co_ci_u32_e64 v188, null, s3, v245, vcc_lo
	v_writelane_b32 v254, s61, 4
	.loc	1 172 20                        ; attention_bwd.py:172:20
	s_add_nc_u64 s[2:3], s[6:7], s[0:1]
	v_readlane_b32 s0, v250, 25
	v_readlane_b32 s1, v250, 26
	.loc	1 172 51                        ; attention_bwd.py:172:51
	s_wait_alu depctr_sa_sdst(0)
	v_add_co_u32 v191, vcc_lo, s2, v244
	v_writelane_b32 v254, s30, 5
	s_wait_alu depctr_va_vcc(0)
	v_add_co_ci_u32_e64 v192, null, s3, v245, vcc_lo
	.loc	1 172 20                        ; attention_bwd.py:172:20
	s_add_nc_u64 s[2:3], s[6:7], s[0:1]
	v_readlane_b32 s0, v250, 27
	v_writelane_b32 v254, s31, 6
	v_readlane_b32 s1, v250, 28
	.loc	1 172 51                        ; attention_bwd.py:172:51
	s_wait_alu depctr_sa_sdst(0)
	v_add_co_u32 v193, vcc_lo, s2, v244
	s_wait_alu depctr_va_vcc(0)
	v_add_co_ci_u32_e64 v194, null, s3, v245, vcc_lo
	v_writelane_b32 v254, s78, 7
	.loc	1 172 20                        ; attention_bwd.py:172:20
	s_add_nc_u64 s[2:3], s[6:7], s[0:1]
	v_readlane_b32 s0, v250, 29
	v_readlane_b32 s1, v250, 30
	.loc	1 172 51                        ; attention_bwd.py:172:51
	s_wait_alu depctr_sa_sdst(0)
	v_add_co_u32 v189, vcc_lo, s2, v244
	v_writelane_b32 v254, s79, 8
	s_wait_alu depctr_va_vcc(0)
	v_add_co_ci_u32_e64 v190, null, s3, v245, vcc_lo
	.loc	1 172 20                        ; attention_bwd.py:172:20
	s_add_nc_u64 s[2:3], s[6:7], s[0:1]
	v_readlane_b32 s0, v250, 31
	v_writelane_b32 v254, s80, 9
	v_readlane_b32 s1, v251, 0
	.loc	1 172 51                        ; attention_bwd.py:172:51
	s_wait_alu depctr_sa_sdst(0)
	v_add_co_u32 v199, vcc_lo, s2, v244
	s_wait_alu depctr_va_vcc(0)
	v_add_co_ci_u32_e64 v200, null, s3, v245, vcc_lo
	v_writelane_b32 v254, s81, 10
	.loc	1 172 20                        ; attention_bwd.py:172:20
	s_add_nc_u64 s[2:3], s[6:7], s[0:1]
	v_readlane_b32 s0, v251, 1
	v_readlane_b32 s1, v251, 2
	.loc	1 172 51                        ; attention_bwd.py:172:51
	s_wait_alu depctr_sa_sdst(0)
	v_add_co_u32 v201, vcc_lo, s2, v244
	v_writelane_b32 v254, s102, 11
	s_wait_alu depctr_va_vcc(0)
	v_add_co_ci_u32_e64 v202, null, s3, v245, vcc_lo
	.loc	1 172 20                        ; attention_bwd.py:172:20
	s_add_nc_u64 s[2:3], s[6:7], s[0:1]
	v_readlane_b32 s0, v251, 3
	v_writelane_b32 v254, s103, 12
	.loc	1 172 51                        ; attention_bwd.py:172:51
	s_wait_alu depctr_sa_sdst(0)
	v_add_co_u32 v195, vcc_lo, s2, v244
	s_wait_alu depctr_va_vcc(0)
	v_add_co_ci_u32_e64 v196, null, s3, v245, vcc_lo
	v_writelane_b32 v254, s20, 13
	.loc	1 172 20                        ; attention_bwd.py:172:20
	s_add_nc_u64 s[2:3], s[6:7], s[58:59]
	v_readlane_b32 s1, v251, 4
	.loc	1 172 51                        ; attention_bwd.py:172:51
	s_wait_alu depctr_sa_sdst(0)
	v_add_co_u32 v197, vcc_lo, s2, v244
	v_writelane_b32 v254, s21, 14
	s_wait_alu depctr_va_vcc(0)
	v_add_co_ci_u32_e64 v198, null, s3, v245, vcc_lo
	.loc	1 172 20                        ; attention_bwd.py:172:20
	s_add_nc_u64 s[2:3], s[6:7], s[60:61]
	v_writelane_b32 v254, s12, 15
	.loc	1 172 51                        ; attention_bwd.py:172:51
	s_wait_alu depctr_sa_sdst(0)
	v_add_co_u32 v203, vcc_lo, s2, v244
	s_wait_alu depctr_va_vcc(0)
	v_add_co_ci_u32_e64 v204, null, s3, v245, vcc_lo
	v_writelane_b32 v254, s13, 16
	.loc	1 172 20                        ; attention_bwd.py:172:20
	s_add_nc_u64 s[2:3], s[6:7], s[30:31]
	.loc	1 172 51                        ; attention_bwd.py:172:51
	s_wait_alu depctr_sa_sdst(0)
	v_add_co_u32 v205, vcc_lo, s2, v244
	v_writelane_b32 v254, s84, 17
	s_wait_alu depctr_va_vcc(0)
	v_add_co_ci_u32_e64 v206, null, s3, v245, vcc_lo
	.loc	1 172 20                        ; attention_bwd.py:172:20
	s_add_nc_u64 s[2:3], s[6:7], s[78:79]
	v_writelane_b32 v254, s85, 18
	.loc	1 172 51                        ; attention_bwd.py:172:51
	s_wait_alu depctr_sa_sdst(0)
	v_add_co_u32 v207, vcc_lo, s2, v244
	s_wait_alu depctr_va_vcc(0)
	v_add_co_ci_u32_e64 v208, null, s3, v245, vcc_lo
	v_writelane_b32 v254, s86, 19
	.loc	1 172 20                        ; attention_bwd.py:172:20
	s_add_nc_u64 s[2:3], s[6:7], s[80:81]
	;; [unrolled: 17-line block ×5, first 2 shown]
	.loc	1 172 51                        ; attention_bwd.py:172:51
	s_wait_alu depctr_sa_sdst(0)
	v_add_co_u32 v221, vcc_lo, s2, v244
	v_writelane_b32 v254, s28, 29
	s_wait_alu depctr_va_vcc(0)
	v_add_co_ci_u32_e64 v222, null, s3, v245, vcc_lo
	.loc	1 172 20                        ; attention_bwd.py:172:20
	s_add_nc_u64 s[2:3], s[6:7], s[14:15]
	v_writelane_b32 v254, s29, 30
	.loc	1 172 51                        ; attention_bwd.py:172:51
	s_wait_alu depctr_sa_sdst(0)
	v_add_co_u32 v223, vcc_lo, s2, v244
	s_wait_alu depctr_va_vcc(0)
	v_add_co_ci_u32_e64 v224, null, s3, v245, vcc_lo
	v_writelane_b32 v254, s36, 31
	v_writelane_b32 v252, s37, 0
	.loc	1 172 20                        ; attention_bwd.py:172:20
	s_add_nc_u64 s[2:3], s[6:7], s[16:17]
	.loc	1 172 51                        ; attention_bwd.py:172:51
	s_wait_alu depctr_sa_sdst(0)
	v_add_co_u32 v231, vcc_lo, s2, v244
	v_writelane_b32 v252, s38, 1
	s_wait_alu depctr_va_vcc(0)
	v_add_co_ci_u32_e64 v232, null, s3, v245, vcc_lo
	.loc	1 172 20                        ; attention_bwd.py:172:20
	s_add_nc_u64 s[2:3], s[6:7], s[26:27]
	v_writelane_b32 v252, s39, 2
	.loc	1 172 51                        ; attention_bwd.py:172:51
	s_wait_alu depctr_sa_sdst(0)
	v_add_co_u32 v227, vcc_lo, s2, v244
	s_wait_alu depctr_va_vcc(0)
	v_add_co_ci_u32_e64 v228, null, s3, v245, vcc_lo
	v_writelane_b32 v252, s40, 3
	.loc	1 172 20                        ; attention_bwd.py:172:20
	s_add_nc_u64 s[2:3], s[6:7], s[28:29]
	.loc	1 172 51                        ; attention_bwd.py:172:51
	s_wait_alu depctr_sa_sdst(0)
	v_add_co_u32 v229, vcc_lo, s2, v244
	v_writelane_b32 v252, s41, 4
	.loc	1 165 36 is_stmt 1              ; attention_bwd.py:165:36
	s_bfe_i32 s2, s33, 0x10001
	.loc	1 172 51                        ; attention_bwd.py:172:51
	s_wait_alu depctr_va_vcc(0)
	v_add_co_ci_u32_e64 v230, null, s3, v245, vcc_lo
	.loc	1 171 16                        ; attention_bwd.py:171:16
	s_wait_alu depctr_sa_sdst(0)
	s_and_b32 s2, s2, 0x90
	v_writelane_b32 v252, s42, 5
	s_wait_alu depctr_sa_sdst(0)
	v_xor_b32_e32 v233, s2, v233
	.loc	1 172 20                        ; attention_bwd.py:172:20
	s_add_nc_u64 s[2:3], s[6:7], s[36:37]
	.loc	1 172 51 is_stmt 0              ; attention_bwd.py:172:51
	s_wait_alu depctr_sa_sdst(0)
	v_add_co_u32 v99, vcc_lo, s2, v244
	s_wait_alu depctr_va_vcc(0)
	v_add_co_ci_u32_e64 v100, null, s3, v245, vcc_lo
	.loc	1 172 20                        ; attention_bwd.py:172:20
	s_add_nc_u64 s[2:3], s[6:7], s[38:39]
	v_writelane_b32 v252, s43, 6
	.loc	1 172 51                        ; attention_bwd.py:172:51
	s_wait_alu depctr_sa_sdst(0)
	v_add_co_u32 v89, vcc_lo, s2, v244
	s_wait_alu depctr_va_vcc(0)
	v_add_co_ci_u32_e64 v90, null, s3, v245, vcc_lo
	.loc	1 172 20                        ; attention_bwd.py:172:20
	s_add_nc_u64 s[2:3], s[6:7], s[40:41]
	v_writelane_b32 v252, s44, 7
	.loc	1 172 51                        ; attention_bwd.py:172:51
	;; [unrolled: 8-line block ×5, first 2 shown]
	s_wait_alu depctr_sa_sdst(0)
	v_add_co_u32 v101, vcc_lo, s2, v244
	s_wait_alu depctr_va_vcc(0)
	v_add_co_ci_u32_e64 v102, null, s3, v245, vcc_lo
	.loc	1 172 20                        ; attention_bwd.py:172:20
	s_add_nc_u64 s[2:3], s[6:7], s[0:1]
	v_readlane_b32 s0, v251, 5
	v_readlane_b32 s1, v251, 6
	.loc	1 172 51                        ; attention_bwd.py:172:51
	s_wait_alu depctr_sa_sdst(0)
	v_add_co_u32 v95, vcc_lo, s2, v244
	s_wait_alu depctr_va_vcc(0)
	v_add_co_ci_u32_e64 v96, null, s3, v245, vcc_lo
	.loc	1 172 20                        ; attention_bwd.py:172:20
	s_add_nc_u64 s[2:3], s[6:7], s[0:1]
	v_readlane_b32 s0, v251, 7
	v_readlane_b32 s1, v251, 8
	.loc	1 172 51                        ; attention_bwd.py:172:51
	;; [unrolled: 9-line block ×6, first 2 shown]
	s_wait_alu depctr_sa_sdst(0)
	v_add_co_u32 v35, vcc_lo, s2, v244
	s_wait_alu depctr_va_vcc(0)
	v_add_co_ci_u32_e64 v36, null, s3, v245, vcc_lo
	.loc	1 172 20                        ; attention_bwd.py:172:20
	s_add_nc_u64 s[2:3], s[6:7], s[0:1]
	v_writelane_b32 v252, s6, 11
	.loc	1 172 51                        ; attention_bwd.py:172:51
	s_wait_alu depctr_sa_sdst(0)
	v_add_co_u32 v3, vcc_lo, s2, v244
	s_wait_alu depctr_va_vcc(0)
	v_add_co_ci_u32_e64 v4, null, s3, v245, vcc_lo
	v_writelane_b32 v252, s7, 12
	v_writelane_b32 v252, s66, 13
	.loc	1 172 20                        ; attention_bwd.py:172:20
	s_add_nc_u64 s[2:3], s[6:7], s[66:67]
	.loc	1 172 51                        ; attention_bwd.py:172:51
	s_wait_alu depctr_sa_sdst(0)
	v_add_co_u32 v7, vcc_lo, s2, v244
	s_wait_alu depctr_va_vcc(0)
	v_add_co_ci_u32_e64 v8, null, s3, v245, vcc_lo
	v_readlane_b32 s0, v250, 0
	v_readlane_b32 s2, v250, 2
	v_readlane_b32 s3, v250, 3
	v_readlane_b32 s1, v250, 1
	v_writelane_b32 v252, s67, 14
	s_mov_b64 s[82:83], s[2:3]
	s_mov_b64 s[80:81], s[0:1]
	.loc	1 148 9 is_stmt 1               ; attention_bwd.py:148:9
	s_add_nc_u64 s[0:1], s[0:1], s[8:9]
.Ltmp8:
	.loc	1 41 56                         ; attention_bwd.py:41:56 @[ attention_bwd.py:200:26 ]
	s_and_b32 s2, s33, 3
	.loc	1 41 18 is_stmt 0               ; attention_bwd.py:41:18 @[ attention_bwd.py:200:26 ]
	s_wait_alu depctr_sa_sdst(0)
	v_add_co_u32 v5, vcc_lo, s0, v17
	s_wait_alu depctr_va_vcc(0)
	v_add_co_ci_u32_e64 v6, null, s1, v18, vcc_lo
.Ltmp9:
	.loc	1 171 16 is_stmt 1              ; attention_bwd.py:171:16
	s_clause 0x1f
	global_load_u16 v12, v[19:20], off
	global_load_u16 v13, v[13:14], off
	;; [unrolled: 1-line block ×32, first 2 shown]
	s_clause 0x1
	global_load_u16 v50, v[87:88], off
	global_load_u16 v51, v[79:80], off
	v_add_nc_u32_e32 v71, 0, v233
	s_wait_loadcnt 0x3e
	ds_store_b16 v71, v236
	s_wait_loadcnt 0x3a
	ds_store_b16 v71, v239 offset:1024
	ds_store_b16 v71, v240 offset:2048
	s_wait_loadcnt 0x34
	ds_store_b16 v71, v243 offset:3072
	ds_store_b16 v71, v129 offset:4096
	s_wait_loadcnt 0x25
	ds_store_b16 v71, v121 offset:5120
	s_wait_loadcnt 0x23
	ds_store_b16 v71, v117 offset:6144
	ds_store_b16 v71, v113 offset:7168
	s_wait_loadcnt 0x1f
	ds_store_b16 v71, v14 offset:8192
	s_wait_loadcnt 0x1d
	;; [unrolled: 2-line block ×8, first 2 shown]
	ds_store_b16 v71, v45 offset:15360
	v_xor_b32_e32 v14, 32, v233
	.loc	1 165 36                        ; attention_bwd.py:165:36
	v_and_b32_e32 v70, 15, v0
	.loc	1 171 58                        ; attention_bwd.py:171:58
	v_and_b32_e32 v33, 16, v0
	s_mov_b64 s[92:93], s[0:1]
	.loc	1 165 36                        ; attention_bwd.py:165:36
	v_readlane_b32 s0, v250, 4
	.loc	1 171 16                        ; attention_bwd.py:171:16
	v_add_nc_u32_e32 v72, 0, v14
	v_xor_b32_e32 v14, 64, v233
	ds_store_b16 v72, v235 offset:256
	ds_store_b16 v72, v238 offset:1280
	;; [unrolled: 1-line block ×14, first 2 shown]
	s_wait_loadcnt 0x5
	ds_store_b16 v72, v46 offset:14592
	s_wait_loadcnt 0x4
	ds_store_b16 v72, v47 offset:15616
	v_add_nc_u32_e32 v73, 0, v14
	ds_store_b16 v73, v234 offset:512
	ds_store_b16 v73, v237 offset:1536
	;; [unrolled: 1-line block ×14, first 2 shown]
	s_wait_loadcnt 0x3
	ds_store_b16 v73, v48 offset:14848
	s_wait_loadcnt 0x2
	ds_store_b16 v73, v49 offset:15872
	v_lshlrev_b32_e32 v29, 4, v0
	v_lshlrev_b32_e32 v247, 7, v70
	v_xor_b32_e32 v14, 0x60, v233
	.loc	1 165 36                        ; attention_bwd.py:165:36
	s_and_b32 s20, s0, 0x60
.Ltmp10:
	.loc	1 41 67                         ; attention_bwd.py:41:67 @[ attention_bwd.py:200:26 ]
	s_mul_i32 s24, s11, s2
	s_delay_alu instid0(VALU_DEP_2) | instskip(NEXT) | instid1(VALU_DEP_2)
.Ltmp11:
	.loc	1 171 16                        ; attention_bwd.py:171:16
	v_and_or_b32 v29, 0x70, v29, v247
	v_add_nc_u32_e32 v74, 0, v14
	ds_store_b16 v74, v116 offset:768
	ds_store_b16 v74, v44 offset:1792
	;; [unrolled: 1-line block ×14, first 2 shown]
	s_wait_loadcnt 0x0
	ds_store_b16 v74, v51 offset:15104
	ds_store_b16 v74, v50 offset:16128
	v_xor_b32_e32 v29, v29, v33
.Ltmp12:
	.loc	1 41 49                         ; attention_bwd.py:41:49 @[ attention_bwd.py:200:26 ]
	s_wait_alu depctr_sa_sdst(0)
	s_ashr_i32 s25, s24, 31
	.loc	1 47 25                         ; attention_bwd.py:47:25 @[ attention_bwd.py:200:26 ]
	s_cmp_gt_i32 vcc_hi, 31
	s_cselect_b32 s3, -1, 0
.Ltmp13:
	.loc	1 171 16                        ; attention_bwd.py:171:16
	v_lshl_or_b32 v29, s20, 6, v29
.Ltmp14:
	.loc	1 47 25                         ; attention_bwd.py:47:25 @[ attention_bwd.py:200:26 ]
	s_cmp_lt_i32 vcc_hi, 32
	s_delay_alu instid0(VALU_DEP_1) | instskip(SKIP_3) | instid1(VALU_DEP_4)
.Ltmp15:
	.loc	1 171 16                        ; attention_bwd.py:171:16
	v_xor_b32_e32 v44, 32, v29
	v_xor_b32_e32 v46, 64, v29
	v_add_nc_u32_e32 v75, 0, v29
	v_xor_b32_e32 v29, 0x60, v29
	v_add_nc_u32_e32 v78, 0, v44
	s_delay_alu instid0(VALU_DEP_4) | instskip(NEXT) | instid1(VALU_DEP_3)
	v_add_nc_u32_e32 v77, 0, v46
	v_add_nc_u32_e32 v76, 0, v29
	s_wait_storecnt_dscnt 0x0
	s_barrier_signal -1
	s_barrier_wait -1
	global_inv scope:SCOPE_SE
	.loc	1 172 16                        ; attention_bwd.py:172:16
	s_clause 0x12
	global_load_u16 v9, v[131:132], off
	global_load_u16 v10, v[133:134], off
	;; [unrolled: 1-line block ×19, first 2 shown]
	scratch_store_b32 off, v33, off offset:1424 ; 4-byte Folded Spill
	s_clause 0x6
	global_load_u16 v28, v[163:164], off
	global_load_u16 v30, v[165:166], off
	;; [unrolled: 1-line block ×7, first 2 shown]
	.loc	1 171 16                        ; attention_bwd.py:171:16
	ds_load_b128 v[235:238], v75
	ds_load_b128 v[164:167], v75 offset:8192
	.loc	1 172 16                        ; attention_bwd.py:172:16
	s_clause 0x1d
	global_load_u16 v34, v[179:180], off
	global_load_u16 v37, v[181:182], off
	;; [unrolled: 1-line block ×30, first 2 shown]
	.loc	1 171 16                        ; attention_bwd.py:171:16
	ds_load_b128 v[218:221], v78
	ds_load_b128 v[83:86], v78 offset:8192
	.loc	1 172 16                        ; attention_bwd.py:172:16
	s_clause 0x7
	global_load_u16 v67, v[95:96], off
	global_load_u16 v68, v[103:104], off
	;; [unrolled: 1-line block ×8, first 2 shown]
	.loc	1 171 16                        ; attention_bwd.py:171:16
	ds_load_b128 v[180:183], v77
	ds_load_b128 v[176:179], v77 offset:8192
	ds_load_b128 v[96:99], v76
	ds_load_b128 v[100:103], v76 offset:8192
	.loc	1 172 16                        ; attention_bwd.py:172:16
	s_wait_storecnt 0x0
	s_wait_loadcnt_dscnt 0x0
	s_barrier_signal -1
	s_barrier_wait -1
	global_inv scope:SCOPE_SE
	ds_store_b16 v71, v9
	ds_store_b16 v71, v13 offset:1024
	ds_store_b16 v71, v17 offset:2048
	;; [unrolled: 1-line block ×14, first 2 shown]
	s_clause 0x3                            ; 16-byte Folded Spill
	scratch_store_b32 off, v71, off offset:1372
	scratch_store_b32 off, v72, off offset:1376
	;; [unrolled: 1-line block ×4, first 2 shown]
	ds_store_b16 v71, v69 offset:15360
	ds_store_b16 v72, v10 offset:256
	;; [unrolled: 1-line block ×49, first 2 shown]
	s_wait_storecnt 0x0
	s_wait_loadcnt_dscnt 0x0
	s_barrier_signal -1
	v_dual_mov_b32 v3, 0 :: v_dual_mov_b32 v4, 0
	s_barrier_wait -1
	global_inv scope:SCOPE_SE
.Ltmp16:
	.loc	1 48 21                         ; attention_bwd.py:48:21 @[ attention_bwd.py:200:26 ]
	s_cbranch_scc1 .LBB0_2
; %bb.1:
	.loc	1 41 49                         ; attention_bwd.py:41:49 @[ attention_bwd.py:200:26 ]
	s_wait_alu depctr_sa_sdst(0)
	s_lshl_b64 s[12:13], s[24:25], 1
	s_wait_alu depctr_sa_sdst(0)
	v_add_co_u32 v7, vcc_lo, v5, s12
	s_wait_alu depctr_va_vcc(0)
	v_add_co_ci_u32_e64 v8, null, s13, v6, vcc_lo
	.loc	1 48 21                         ; attention_bwd.py:48:21 @[ attention_bwd.py:200:26 ]
	global_load_u16 v4, v[7:8], off
.LBB0_2:
	s_wait_alu depctr_sa_sdst(0)
	v_cndmask_b32_e64 v7, 0, 1, s3
.Ltmp17:
	.loc	1 171 69                        ; attention_bwd.py:171:69
	s_lshl_b32 s31, s11, 2
.Ltmp18:
	.loc	1 48 21                         ; attention_bwd.py:48:21 @[ attention_bwd.py:200:26 ]
	s_and_not1_b32 vcc_lo, exec_lo, s3
	.loc	1 41 67                         ; attention_bwd.py:41:67 @[ attention_bwd.py:200:26 ]
	s_wait_alu depctr_sa_sdst(0)
	s_add_co_i32 s38, s24, s31
	.loc	1 41 49 is_stmt 0               ; attention_bwd.py:41:49 @[ attention_bwd.py:200:26 ]
	s_wait_alu depctr_sa_sdst(0)
	s_ashr_i32 s39, s38, 31
	.loc	1 48 21 is_stmt 1               ; attention_bwd.py:48:21 @[ attention_bwd.py:200:26 ]
	v_cmp_ne_u32_e64 s33, 1, v7
	s_cbranch_vccnz .LBB0_4
; %bb.3:
	.loc	1 41 49                         ; attention_bwd.py:41:49 @[ attention_bwd.py:200:26 ]
	s_wait_alu depctr_sa_sdst(0)
	s_lshl_b64 s[12:13], s[38:39], 1
	s_wait_alu depctr_sa_sdst(0)
	v_add_co_u32 v7, vcc_lo, v5, s12
	s_wait_alu depctr_va_vcc(0)
	v_add_co_ci_u32_e64 v8, null, s13, v6, vcc_lo
	.loc	1 48 21                         ; attention_bwd.py:48:21 @[ attention_bwd.py:200:26 ]
	global_load_u16 v3, v[7:8], off
.LBB0_4:
	.loc	1 0 21 is_stmt 0                ; attention_bwd.py:0:21
	v_dual_mov_b32 v7, 0 :: v_dual_mov_b32 v8, 0
	v_and_b32_e32 v222, 16, v0
	.loc	1 41 67 is_stmt 1               ; attention_bwd.py:41:67 @[ attention_bwd.py:200:26 ]
	s_lshl3_add_u32 s40, s11, s24
	.loc	1 48 21                         ; attention_bwd.py:48:21 @[ attention_bwd.py:200:26 ]
	s_and_b32 vcc_lo, exec_lo, s33
	.loc	1 41 49                         ; attention_bwd.py:41:49 @[ attention_bwd.py:200:26 ]
	s_wait_alu depctr_sa_sdst(0)
	s_ashr_i32 s41, s40, 31
	.loc	1 48 21                         ; attention_bwd.py:48:21 @[ attention_bwd.py:200:26 ]
	s_cbranch_vccnz .LBB0_6
; %bb.5:
	.loc	1 41 49                         ; attention_bwd.py:41:49 @[ attention_bwd.py:200:26 ]
	s_wait_alu depctr_sa_sdst(0)
	s_lshl_b64 s[12:13], s[40:41], 1
	s_wait_alu depctr_sa_sdst(0)
	v_add_co_u32 v8, vcc_lo, v5, s12
	s_wait_alu depctr_va_vcc(0)
	v_add_co_ci_u32_e64 v9, null, s13, v6, vcc_lo
	.loc	1 48 21                         ; attention_bwd.py:48:21 @[ attention_bwd.py:200:26 ]
	global_load_u16 v8, v[8:9], off
.LBB0_6:
	.loc	1 41 67                         ; attention_bwd.py:41:67 @[ attention_bwd.py:200:26 ]
	s_mul_i32 s12, s11, 12
	.loc	1 48 21                         ; attention_bwd.py:48:21 @[ attention_bwd.py:200:26 ]
	s_and_b32 vcc_lo, exec_lo, s33
	.loc	1 41 67                         ; attention_bwd.py:41:67 @[ attention_bwd.py:200:26 ]
	s_wait_alu depctr_sa_sdst(0)
	s_add_co_i32 s42, s24, s12
	.loc	1 41 49 is_stmt 0               ; attention_bwd.py:41:49 @[ attention_bwd.py:200:26 ]
	s_wait_alu depctr_sa_sdst(0)
	s_ashr_i32 s43, s42, 31
	.loc	1 48 21 is_stmt 1               ; attention_bwd.py:48:21 @[ attention_bwd.py:200:26 ]
	s_cbranch_vccnz .LBB0_8
; %bb.7:
	.loc	1 41 49                         ; attention_bwd.py:41:49 @[ attention_bwd.py:200:26 ]
	s_wait_alu depctr_sa_sdst(0)
	s_lshl_b64 s[12:13], s[42:43], 1
	s_wait_alu depctr_sa_sdst(0)
	v_add_co_u32 v9, vcc_lo, v5, s12
	s_wait_alu depctr_va_vcc(0)
	v_add_co_ci_u32_e64 v10, null, s13, v6, vcc_lo
	.loc	1 48 21                         ; attention_bwd.py:48:21 @[ attention_bwd.py:200:26 ]
	global_load_u16 v7, v[9:10], off
.Ltmp19:
.LBB0_8:
	.loc	1 171 69                        ; attention_bwd.py:171:69
	s_lshl_b32 s34, s11, 4
	v_dual_mov_b32 v9, 0 :: v_dual_mov_b32 v10, 0
.Ltmp20:
	.loc	1 41 67                         ; attention_bwd.py:41:67 @[ attention_bwd.py:200:26 ]
	s_wait_alu depctr_sa_sdst(0)
	s_add_co_i32 s84, s24, s34
	.loc	1 48 21                         ; attention_bwd.py:48:21 @[ attention_bwd.py:200:26 ]
	s_and_b32 vcc_lo, exec_lo, s33
	.loc	1 41 49                         ; attention_bwd.py:41:49 @[ attention_bwd.py:200:26 ]
	s_wait_alu depctr_sa_sdst(0)
	s_ashr_i32 s85, s84, 31
	.loc	1 48 21                         ; attention_bwd.py:48:21 @[ attention_bwd.py:200:26 ]
	s_cbranch_vccnz .LBB0_10
; %bb.9:
	.loc	1 41 49                         ; attention_bwd.py:41:49 @[ attention_bwd.py:200:26 ]
	s_wait_alu depctr_sa_sdst(0)
	s_lshl_b64 s[12:13], s[84:85], 1
	s_wait_alu depctr_sa_sdst(0)
	v_add_co_u32 v10, vcc_lo, v5, s12
	s_wait_alu depctr_va_vcc(0)
	v_add_co_ci_u32_e64 v11, null, s13, v6, vcc_lo
	.loc	1 48 21                         ; attention_bwd.py:48:21 @[ attention_bwd.py:200:26 ]
	global_load_u16 v10, v[10:11], off
.Ltmp21:
.LBB0_10:
	.loc	1 171 69                        ; attention_bwd.py:171:69
	s_mul_i32 s30, s11, 20
.Ltmp22:
	.loc	1 48 21                         ; attention_bwd.py:48:21 @[ attention_bwd.py:200:26 ]
	s_and_b32 vcc_lo, exec_lo, s33
	.loc	1 41 67                         ; attention_bwd.py:41:67 @[ attention_bwd.py:200:26 ]
	s_wait_alu depctr_sa_sdst(0)
	s_add_co_i32 s86, s24, s30
	.loc	1 41 49 is_stmt 0               ; attention_bwd.py:41:49 @[ attention_bwd.py:200:26 ]
	s_wait_alu depctr_sa_sdst(0)
	s_ashr_i32 s87, s86, 31
	.loc	1 48 21 is_stmt 1               ; attention_bwd.py:48:21 @[ attention_bwd.py:200:26 ]
	s_cbranch_vccnz .LBB0_12
; %bb.11:
	.loc	1 41 49                         ; attention_bwd.py:41:49 @[ attention_bwd.py:200:26 ]
	s_wait_alu depctr_sa_sdst(0)
	s_lshl_b64 s[12:13], s[86:87], 1
	s_wait_alu depctr_sa_sdst(0)
	v_add_co_u32 v11, vcc_lo, v5, s12
	s_wait_alu depctr_va_vcc(0)
	v_add_co_ci_u32_e64 v12, null, s13, v6, vcc_lo
	.loc	1 48 21                         ; attention_bwd.py:48:21 @[ attention_bwd.py:200:26 ]
	global_load_u16 v9, v[11:12], off
.LBB0_12:
	.loc	1 41 67                         ; attention_bwd.py:41:67 @[ attention_bwd.py:200:26 ]
	s_mul_i32 s12, s11, 24
	v_dual_mov_b32 v11, 0 :: v_dual_mov_b32 v12, 0
	s_wait_alu depctr_sa_sdst(0)
	s_add_co_i32 s88, s24, s12
	.loc	1 48 21                         ; attention_bwd.py:48:21 @[ attention_bwd.py:200:26 ]
	s_and_b32 vcc_lo, exec_lo, s33
	.loc	1 41 49                         ; attention_bwd.py:41:49 @[ attention_bwd.py:200:26 ]
	s_wait_alu depctr_sa_sdst(0)
	s_ashr_i32 s89, s88, 31
	.loc	1 48 21                         ; attention_bwd.py:48:21 @[ attention_bwd.py:200:26 ]
	s_cbranch_vccnz .LBB0_14
; %bb.13:
	.loc	1 41 49                         ; attention_bwd.py:41:49 @[ attention_bwd.py:200:26 ]
	s_wait_alu depctr_sa_sdst(0)
	s_lshl_b64 s[12:13], s[88:89], 1
	s_wait_alu depctr_sa_sdst(0)
	v_add_co_u32 v12, vcc_lo, v5, s12
	s_wait_alu depctr_va_vcc(0)
	v_add_co_ci_u32_e64 v13, null, s13, v6, vcc_lo
	.loc	1 48 21                         ; attention_bwd.py:48:21 @[ attention_bwd.py:200:26 ]
	global_load_u16 v12, v[12:13], off
.LBB0_14:
	.loc	1 41 67                         ; attention_bwd.py:41:67 @[ attention_bwd.py:200:26 ]
	s_mul_i32 s12, s11, 28
	.loc	1 48 21                         ; attention_bwd.py:48:21 @[ attention_bwd.py:200:26 ]
	s_and_b32 vcc_lo, exec_lo, s33
	.loc	1 41 67                         ; attention_bwd.py:41:67 @[ attention_bwd.py:200:26 ]
	s_wait_alu depctr_sa_sdst(0)
	s_add_co_i32 s90, s24, s12
	.loc	1 41 49 is_stmt 0               ; attention_bwd.py:41:49 @[ attention_bwd.py:200:26 ]
	s_wait_alu depctr_sa_sdst(0)
	s_ashr_i32 s91, s90, 31
	.loc	1 48 21 is_stmt 1               ; attention_bwd.py:48:21 @[ attention_bwd.py:200:26 ]
	s_cbranch_vccnz .LBB0_16
; %bb.15:
	.loc	1 41 49                         ; attention_bwd.py:41:49 @[ attention_bwd.py:200:26 ]
	s_wait_alu depctr_sa_sdst(0)
	s_lshl_b64 s[12:13], s[90:91], 1
	s_wait_alu depctr_sa_sdst(0)
	v_add_co_u32 v13, vcc_lo, v5, s12
	s_wait_alu depctr_va_vcc(0)
	v_add_co_ci_u32_e64 v14, null, s13, v6, vcc_lo
	.loc	1 48 21                         ; attention_bwd.py:48:21 @[ attention_bwd.py:200:26 ]
	global_load_u16 v11, v[13:14], off
.Ltmp23:
.LBB0_16:
	.loc	1 171 69                        ; attention_bwd.py:171:69
	s_lshl_b32 s28, s11, 5
	v_dual_mov_b32 v13, 0 :: v_dual_mov_b32 v14, 0
.Ltmp24:
	.loc	1 41 67                         ; attention_bwd.py:41:67 @[ attention_bwd.py:200:26 ]
	s_wait_alu depctr_sa_sdst(0)
	s_add_co_i32 s94, s24, s28
	.loc	1 48 21                         ; attention_bwd.py:48:21 @[ attention_bwd.py:200:26 ]
	s_and_b32 vcc_lo, exec_lo, s33
	.loc	1 41 49                         ; attention_bwd.py:41:49 @[ attention_bwd.py:200:26 ]
	s_wait_alu depctr_sa_sdst(0)
	s_ashr_i32 s95, s94, 31
	.loc	1 48 21                         ; attention_bwd.py:48:21 @[ attention_bwd.py:200:26 ]
	s_cbranch_vccnz .LBB0_18
; %bb.17:
	.loc	1 41 49                         ; attention_bwd.py:41:49 @[ attention_bwd.py:200:26 ]
	s_wait_alu depctr_sa_sdst(0)
	s_lshl_b64 s[12:13], s[94:95], 1
	s_wait_alu depctr_sa_sdst(0)
	v_add_co_u32 v14, vcc_lo, v5, s12
	s_wait_alu depctr_va_vcc(0)
	v_add_co_ci_u32_e64 v15, null, s13, v6, vcc_lo
	.loc	1 48 21                         ; attention_bwd.py:48:21 @[ attention_bwd.py:200:26 ]
	global_load_u16 v14, v[14:15], off
.Ltmp25:
.LBB0_18:
	.loc	1 171 69                        ; attention_bwd.py:171:69
	s_mul_i32 s27, s11, 36
.Ltmp26:
	.loc	1 48 21                         ; attention_bwd.py:48:21 @[ attention_bwd.py:200:26 ]
	s_and_b32 vcc_lo, exec_lo, s33
	.loc	1 41 67                         ; attention_bwd.py:41:67 @[ attention_bwd.py:200:26 ]
	s_wait_alu depctr_sa_sdst(0)
	s_add_co_i32 s96, s24, s27
	.loc	1 41 49 is_stmt 0               ; attention_bwd.py:41:49 @[ attention_bwd.py:200:26 ]
	s_wait_alu depctr_sa_sdst(0)
	s_ashr_i32 s97, s96, 31
	.loc	1 48 21 is_stmt 1               ; attention_bwd.py:48:21 @[ attention_bwd.py:200:26 ]
	s_cbranch_vccnz .LBB0_20
; %bb.19:
	.loc	1 41 49                         ; attention_bwd.py:41:49 @[ attention_bwd.py:200:26 ]
	s_wait_alu depctr_sa_sdst(0)
	s_lshl_b64 s[12:13], s[96:97], 1
	s_wait_alu depctr_sa_sdst(0)
	v_add_co_u32 v15, vcc_lo, v5, s12
	s_wait_alu depctr_va_vcc(0)
	v_add_co_ci_u32_e64 v16, null, s13, v6, vcc_lo
	.loc	1 48 21                         ; attention_bwd.py:48:21 @[ attention_bwd.py:200:26 ]
	global_load_u16 v13, v[15:16], off
.LBB0_20:
	.loc	1 41 67                         ; attention_bwd.py:41:67 @[ attention_bwd.py:200:26 ]
	s_mul_i32 s12, s11, 40
	v_dual_mov_b32 v15, 0 :: v_dual_mov_b32 v16, 0
	s_wait_alu depctr_sa_sdst(0)
	s_add_co_i32 s100, s24, s12
	.loc	1 48 21                         ; attention_bwd.py:48:21 @[ attention_bwd.py:200:26 ]
	s_and_b32 vcc_lo, exec_lo, s33
	.loc	1 41 49                         ; attention_bwd.py:41:49 @[ attention_bwd.py:200:26 ]
	s_wait_alu depctr_sa_sdst(0)
	s_ashr_i32 s101, s100, 31
	.loc	1 48 21                         ; attention_bwd.py:48:21 @[ attention_bwd.py:200:26 ]
	s_cbranch_vccnz .LBB0_22
; %bb.21:
	.loc	1 41 49                         ; attention_bwd.py:41:49 @[ attention_bwd.py:200:26 ]
	s_wait_alu depctr_sa_sdst(0)
	s_lshl_b64 s[12:13], s[100:101], 1
	s_wait_alu depctr_sa_sdst(0)
	v_add_co_u32 v16, vcc_lo, v5, s12
	s_wait_alu depctr_va_vcc(0)
	v_add_co_ci_u32_e64 v17, null, s13, v6, vcc_lo
	.loc	1 48 21                         ; attention_bwd.py:48:21 @[ attention_bwd.py:200:26 ]
	global_load_u16 v16, v[16:17], off
.LBB0_22:
	.loc	1 41 67                         ; attention_bwd.py:41:67 @[ attention_bwd.py:200:26 ]
	s_mul_i32 s12, s11, 44
	.loc	1 48 21                         ; attention_bwd.py:48:21 @[ attention_bwd.py:200:26 ]
	s_and_b32 vcc_lo, exec_lo, s33
	.loc	1 41 67                         ; attention_bwd.py:41:67 @[ attention_bwd.py:200:26 ]
	s_wait_alu depctr_sa_sdst(0)
	s_add_co_i32 s102, s24, s12
	.loc	1 41 49 is_stmt 0               ; attention_bwd.py:41:49 @[ attention_bwd.py:200:26 ]
	s_wait_alu depctr_sa_sdst(0)
	s_ashr_i32 s103, s102, 31
	.loc	1 48 21 is_stmt 1               ; attention_bwd.py:48:21 @[ attention_bwd.py:200:26 ]
	s_cbranch_vccnz .LBB0_24
; %bb.23:
	.loc	1 41 49                         ; attention_bwd.py:41:49 @[ attention_bwd.py:200:26 ]
	s_wait_alu depctr_sa_sdst(0)
	s_lshl_b64 s[12:13], s[102:103], 1
	s_wait_alu depctr_sa_sdst(0)
	v_add_co_u32 v17, vcc_lo, v5, s12
	s_wait_alu depctr_va_vcc(0)
	v_add_co_ci_u32_e64 v18, null, s13, v6, vcc_lo
	.loc	1 48 21                         ; attention_bwd.py:48:21 @[ attention_bwd.py:200:26 ]
	global_load_u16 v15, v[17:18], off
.Ltmp27:
.LBB0_24:
	.loc	1 171 69                        ; attention_bwd.py:171:69
	s_mul_i32 s29, s11, 48
	v_dual_mov_b32 v17, 0 :: v_dual_mov_b32 v18, 0
.Ltmp28:
	.loc	1 41 67                         ; attention_bwd.py:41:67 @[ attention_bwd.py:200:26 ]
	s_wait_alu depctr_sa_sdst(0)
	s_add_co_i32 s0, s24, s29
	.loc	1 48 21                         ; attention_bwd.py:48:21 @[ attention_bwd.py:200:26 ]
	s_and_b32 vcc_lo, exec_lo, s33
	.loc	1 41 49                         ; attention_bwd.py:41:49 @[ attention_bwd.py:200:26 ]
	s_wait_alu depctr_sa_sdst(0)
	s_ashr_i32 s1, s0, 31
	.loc	1 48 21                         ; attention_bwd.py:48:21 @[ attention_bwd.py:200:26 ]
	s_cbranch_vccnz .LBB0_26
; %bb.25:
	.loc	1 41 49                         ; attention_bwd.py:41:49 @[ attention_bwd.py:200:26 ]
	s_wait_alu depctr_sa_sdst(0)
	s_lshl_b64 s[12:13], s[0:1], 1
	s_wait_alu depctr_sa_sdst(0)
	v_add_co_u32 v18, vcc_lo, v5, s12
	s_wait_alu depctr_va_vcc(0)
	v_add_co_ci_u32_e64 v19, null, s13, v6, vcc_lo
	.loc	1 48 21                         ; attention_bwd.py:48:21 @[ attention_bwd.py:200:26 ]
	global_load_u16 v18, v[18:19], off
.Ltmp29:
.LBB0_26:
	.loc	1 171 69                        ; attention_bwd.py:171:69
	s_mul_i32 s26, s11, 52
.Ltmp30:
	.loc	1 48 21                         ; attention_bwd.py:48:21 @[ attention_bwd.py:200:26 ]
	s_and_b32 vcc_lo, exec_lo, s33
	.loc	1 41 67                         ; attention_bwd.py:41:67 @[ attention_bwd.py:200:26 ]
	s_wait_alu depctr_sa_sdst(0)
	s_add_co_i32 s4, s24, s26
	.loc	1 41 49 is_stmt 0               ; attention_bwd.py:41:49 @[ attention_bwd.py:200:26 ]
	s_wait_alu depctr_sa_sdst(0)
	s_ashr_i32 s5, s4, 31
	.loc	1 48 21 is_stmt 1               ; attention_bwd.py:48:21 @[ attention_bwd.py:200:26 ]
	s_cbranch_vccnz .LBB0_28
; %bb.27:
	.loc	1 41 49                         ; attention_bwd.py:41:49 @[ attention_bwd.py:200:26 ]
	s_wait_alu depctr_sa_sdst(0)
	s_lshl_b64 s[12:13], s[4:5], 1
	s_wait_alu depctr_sa_sdst(0)
	v_add_co_u32 v19, vcc_lo, v5, s12
	s_wait_alu depctr_va_vcc(0)
	v_add_co_ci_u32_e64 v20, null, s13, v6, vcc_lo
	.loc	1 48 21                         ; attention_bwd.py:48:21 @[ attention_bwd.py:200:26 ]
	global_load_u16 v17, v[19:20], off
.LBB0_28:
	.loc	1 41 67                         ; attention_bwd.py:41:67 @[ attention_bwd.py:200:26 ]
	s_mul_i32 s12, s11, 56
	v_dual_mov_b32 v19, 0 :: v_dual_mov_b32 v20, 0
	s_wait_alu depctr_sa_sdst(0)
	s_add_co_i32 s6, s24, s12
	.loc	1 48 21                         ; attention_bwd.py:48:21 @[ attention_bwd.py:200:26 ]
	s_and_b32 vcc_lo, exec_lo, s33
	.loc	1 41 49                         ; attention_bwd.py:41:49 @[ attention_bwd.py:200:26 ]
	s_wait_alu depctr_sa_sdst(0)
	s_ashr_i32 s7, s6, 31
	.loc	1 48 21                         ; attention_bwd.py:48:21 @[ attention_bwd.py:200:26 ]
	s_cbranch_vccnz .LBB0_30
; %bb.29:
	.loc	1 41 49                         ; attention_bwd.py:41:49 @[ attention_bwd.py:200:26 ]
	s_wait_alu depctr_sa_sdst(0)
	s_lshl_b64 s[12:13], s[6:7], 1
	s_wait_alu depctr_sa_sdst(0)
	v_add_co_u32 v20, vcc_lo, v5, s12
	s_wait_alu depctr_va_vcc(0)
	v_add_co_ci_u32_e64 v21, null, s13, v6, vcc_lo
	.loc	1 48 21                         ; attention_bwd.py:48:21 @[ attention_bwd.py:200:26 ]
	global_load_u16 v20, v[20:21], off
.LBB0_30:
	.loc	1 0 21 is_stmt 0                ; attention_bwd.py:0:21
	v_readlane_b32 s12, v250, 9
	v_readlane_b32 s13, v250, 10
	.loc	1 48 21                         ; attention_bwd.py:48:21 @[ attention_bwd.py:200:26 ]
	s_and_b32 vcc_lo, exec_lo, s33
	s_load_b64 s[54:55], s[12:13], 0x20
	.loc	1 41 67 is_stmt 1               ; attention_bwd.py:41:67 @[ attention_bwd.py:200:26 ]
	s_mul_i32 s12, s11, 60
	s_wait_alu depctr_sa_sdst(0)
	s_add_co_i32 s14, s24, s12
	.loc	1 41 49 is_stmt 0               ; attention_bwd.py:41:49 @[ attention_bwd.py:200:26 ]
	s_wait_alu depctr_sa_sdst(0)
	s_ashr_i32 s15, s14, 31
	.loc	1 48 21 is_stmt 1               ; attention_bwd.py:48:21 @[ attention_bwd.py:200:26 ]
	s_cbranch_vccnz .LBB0_32
; %bb.31:
	.loc	1 41 49                         ; attention_bwd.py:41:49 @[ attention_bwd.py:200:26 ]
	s_wait_alu depctr_sa_sdst(0)
	s_lshl_b64 s[12:13], s[14:15], 1
	s_wait_alu depctr_sa_sdst(0)
	v_add_co_u32 v5, vcc_lo, v5, s12
	s_wait_alu depctr_va_vcc(0)
	v_add_co_ci_u32_e64 v6, null, s13, v6, vcc_lo
	.loc	1 48 21                         ; attention_bwd.py:48:21 @[ attention_bwd.py:200:26 ]
	global_load_u16 v19, v[5:6], off
.LBB0_32:
	.loc	1 42 37                         ; attention_bwd.py:42:37 @[ attention_bwd.py:200:26 ]
	v_readlane_b32 s2, v250, 7
	v_dual_mov_b32 v5, 0 :: v_dual_mov_b32 v6, 0
.Ltmp31:
	.loc	1 151 10                        ; attention_bwd.py:151:10
	s_wait_kmcnt 0x0
	s_add_nc_u64 s[18:19], s[54:55], s[8:9]
.Ltmp32:
	.loc	1 58 21                         ; attention_bwd.py:58:21 @[ attention_bwd.py:200:26 ]
	s_and_b32 vcc_lo, exec_lo, s33
	.loc	1 42 37                         ; attention_bwd.py:42:37 @[ attention_bwd.py:200:26 ]
	s_mul_i32 s46, s10, s2
	.loc	1 42 19 is_stmt 0               ; attention_bwd.py:42:19 @[ attention_bwd.py:200:26 ]
	s_wait_alu depctr_sa_sdst(0)
	s_ashr_i32 s47, s46, 31
	.loc	1 58 21 is_stmt 1               ; attention_bwd.py:58:21 @[ attention_bwd.py:200:26 ]
	s_cbranch_vccnz .LBB0_34
; %bb.33:
	.loc	1 42 19                         ; attention_bwd.py:42:19 @[ attention_bwd.py:200:26 ]
	s_wait_alu depctr_sa_sdst(0)
	s_lshl_b64 s[12:13], s[46:47], 1
	s_wait_alu depctr_sa_sdst(0)
	s_add_nc_u64 s[12:13], s[18:19], s[12:13]
	.loc	1 42 50 is_stmt 0               ; attention_bwd.py:42:50 @[ attention_bwd.py:200:26 ]
	s_wait_alu depctr_sa_sdst(0)
	v_add_co_u32 v21, vcc_lo, s12, v244
	s_wait_alu depctr_va_vcc(0)
	v_add_co_ci_u32_e64 v22, null, s13, v245, vcc_lo
	.loc	1 58 21 is_stmt 1               ; attention_bwd.py:58:21 @[ attention_bwd.py:200:26 ]
	global_load_u16 v6, v[21:22], off
.LBB0_34:
	.loc	1 42 37                         ; attention_bwd.py:42:37 @[ attention_bwd.py:200:26 ]
	s_lshl1_add_u32 s48, s10, s46
	.loc	1 58 21                         ; attention_bwd.py:58:21 @[ attention_bwd.py:200:26 ]
	s_and_b32 vcc_lo, exec_lo, s33
	.loc	1 42 19                         ; attention_bwd.py:42:19 @[ attention_bwd.py:200:26 ]
	s_wait_alu depctr_sa_sdst(0)
	s_ashr_i32 s49, s48, 31
	.loc	1 58 21                         ; attention_bwd.py:58:21 @[ attention_bwd.py:200:26 ]
	s_cbranch_vccnz .LBB0_36
; %bb.35:
	.loc	1 42 19                         ; attention_bwd.py:42:19 @[ attention_bwd.py:200:26 ]
	s_wait_alu depctr_sa_sdst(0)
	s_lshl_b64 s[12:13], s[48:49], 1
	s_wait_alu depctr_sa_sdst(0)
	s_add_nc_u64 s[12:13], s[18:19], s[12:13]
	.loc	1 42 50 is_stmt 0               ; attention_bwd.py:42:50 @[ attention_bwd.py:200:26 ]
	s_wait_alu depctr_sa_sdst(0)
	v_add_co_u32 v21, vcc_lo, s12, v244
	s_wait_alu depctr_va_vcc(0)
	v_add_co_ci_u32_e64 v22, null, s13, v245, vcc_lo
	.loc	1 58 21 is_stmt 1               ; attention_bwd.py:58:21 @[ attention_bwd.py:200:26 ]
	global_load_u16 v5, v[21:22], off
.LBB0_36:
	.loc	1 0 21 is_stmt 0                ; attention_bwd.py:0:21
	v_dual_mov_b32 v21, 0 :: v_dual_mov_b32 v22, 0
	.loc	1 42 37 is_stmt 1               ; attention_bwd.py:42:37 @[ attention_bwd.py:200:26 ]
	s_lshl2_add_u32 s50, s10, s46
	.loc	1 58 21                         ; attention_bwd.py:58:21 @[ attention_bwd.py:200:26 ]
	s_and_b32 vcc_lo, exec_lo, s33
	.loc	1 42 19                         ; attention_bwd.py:42:19 @[ attention_bwd.py:200:26 ]
	s_wait_alu depctr_sa_sdst(0)
	s_ashr_i32 s51, s50, 31
	.loc	1 58 21                         ; attention_bwd.py:58:21 @[ attention_bwd.py:200:26 ]
	s_cbranch_vccnz .LBB0_38
; %bb.37:
	.loc	1 42 19                         ; attention_bwd.py:42:19 @[ attention_bwd.py:200:26 ]
	s_wait_alu depctr_sa_sdst(0)
	s_lshl_b64 s[12:13], s[50:51], 1
	s_wait_alu depctr_sa_sdst(0)
	s_add_nc_u64 s[12:13], s[18:19], s[12:13]
	.loc	1 42 50 is_stmt 0               ; attention_bwd.py:42:50 @[ attention_bwd.py:200:26 ]
	s_wait_alu depctr_sa_sdst(0)
	v_add_co_u32 v22, vcc_lo, s12, v244
	s_wait_alu depctr_va_vcc(0)
	v_add_co_ci_u32_e64 v23, null, s13, v245, vcc_lo
	.loc	1 58 21 is_stmt 1               ; attention_bwd.py:58:21 @[ attention_bwd.py:200:26 ]
	global_load_u16 v22, v[22:23], off
.LBB0_38:
	.loc	1 42 37                         ; attention_bwd.py:42:37 @[ attention_bwd.py:200:26 ]
	s_mul_i32 s12, s10, 6
	.loc	1 58 21                         ; attention_bwd.py:58:21 @[ attention_bwd.py:200:26 ]
	s_and_b32 vcc_lo, exec_lo, s33
	.loc	1 42 37                         ; attention_bwd.py:42:37 @[ attention_bwd.py:200:26 ]
	s_wait_alu depctr_sa_sdst(0)
	s_add_co_i32 s52, s46, s12
	.loc	1 42 19 is_stmt 0               ; attention_bwd.py:42:19 @[ attention_bwd.py:200:26 ]
	s_wait_alu depctr_sa_sdst(0)
	s_ashr_i32 s53, s52, 31
	.loc	1 58 21 is_stmt 1               ; attention_bwd.py:58:21 @[ attention_bwd.py:200:26 ]
	s_cbranch_vccnz .LBB0_40
; %bb.39:
	.loc	1 42 19                         ; attention_bwd.py:42:19 @[ attention_bwd.py:200:26 ]
	s_wait_alu depctr_sa_sdst(0)
	s_lshl_b64 s[12:13], s[52:53], 1
	s_wait_alu depctr_sa_sdst(0)
	s_add_nc_u64 s[12:13], s[18:19], s[12:13]
	.loc	1 42 50 is_stmt 0               ; attention_bwd.py:42:50 @[ attention_bwd.py:200:26 ]
	s_wait_alu depctr_sa_sdst(0)
	v_add_co_u32 v23, vcc_lo, s12, v244
	s_wait_alu depctr_va_vcc(0)
	v_add_co_ci_u32_e64 v24, null, s13, v245, vcc_lo
	.loc	1 58 21 is_stmt 1               ; attention_bwd.py:58:21 @[ attention_bwd.py:200:26 ]
	global_load_u16 v21, v[23:24], off
.LBB0_40:
	.loc	1 0 21 is_stmt 0                ; attention_bwd.py:0:21
	v_dual_mov_b32 v23, 0 :: v_dual_mov_b32 v24, 0
	.loc	1 42 37 is_stmt 1               ; attention_bwd.py:42:37 @[ attention_bwd.py:200:26 ]
	s_lshl3_add_u32 s56, s10, s46
	.loc	1 58 21                         ; attention_bwd.py:58:21 @[ attention_bwd.py:200:26 ]
	s_and_b32 vcc_lo, exec_lo, s33
	.loc	1 42 19                         ; attention_bwd.py:42:19 @[ attention_bwd.py:200:26 ]
	s_wait_alu depctr_sa_sdst(0)
	s_ashr_i32 s57, s56, 31
	.loc	1 58 21                         ; attention_bwd.py:58:21 @[ attention_bwd.py:200:26 ]
	s_cbranch_vccnz .LBB0_42
; %bb.41:
	.loc	1 42 19                         ; attention_bwd.py:42:19 @[ attention_bwd.py:200:26 ]
	s_wait_alu depctr_sa_sdst(0)
	s_lshl_b64 s[12:13], s[56:57], 1
	s_wait_alu depctr_sa_sdst(0)
	s_add_nc_u64 s[12:13], s[18:19], s[12:13]
	.loc	1 42 50 is_stmt 0               ; attention_bwd.py:42:50 @[ attention_bwd.py:200:26 ]
	s_wait_alu depctr_sa_sdst(0)
	v_add_co_u32 v24, vcc_lo, s12, v244
	s_wait_alu depctr_va_vcc(0)
	v_add_co_ci_u32_e64 v25, null, s13, v245, vcc_lo
	.loc	1 58 21 is_stmt 1               ; attention_bwd.py:58:21 @[ attention_bwd.py:200:26 ]
	global_load_u16 v24, v[24:25], off
.LBB0_42:
	.loc	1 42 37                         ; attention_bwd.py:42:37 @[ attention_bwd.py:200:26 ]
	s_mul_i32 s12, s10, 10
	.loc	1 58 21                         ; attention_bwd.py:58:21 @[ attention_bwd.py:200:26 ]
	s_and_b32 vcc_lo, exec_lo, s33
	.loc	1 42 37                         ; attention_bwd.py:42:37 @[ attention_bwd.py:200:26 ]
	s_wait_alu depctr_sa_sdst(0)
	s_add_co_i32 s58, s46, s12
	.loc	1 42 19 is_stmt 0               ; attention_bwd.py:42:19 @[ attention_bwd.py:200:26 ]
	s_wait_alu depctr_sa_sdst(0)
	s_ashr_i32 s59, s58, 31
	.loc	1 58 21 is_stmt 1               ; attention_bwd.py:58:21 @[ attention_bwd.py:200:26 ]
	s_cbranch_vccnz .LBB0_44
; %bb.43:
	.loc	1 42 19                         ; attention_bwd.py:42:19 @[ attention_bwd.py:200:26 ]
	s_wait_alu depctr_sa_sdst(0)
	s_lshl_b64 s[12:13], s[58:59], 1
	s_wait_alu depctr_sa_sdst(0)
	s_add_nc_u64 s[12:13], s[18:19], s[12:13]
	.loc	1 42 50 is_stmt 0               ; attention_bwd.py:42:50 @[ attention_bwd.py:200:26 ]
	s_wait_alu depctr_sa_sdst(0)
	v_add_co_u32 v25, vcc_lo, s12, v244
	s_wait_alu depctr_va_vcc(0)
	v_add_co_ci_u32_e64 v26, null, s13, v245, vcc_lo
	.loc	1 58 21 is_stmt 1               ; attention_bwd.py:58:21 @[ attention_bwd.py:200:26 ]
	global_load_u16 v23, v[25:26], off
.LBB0_44:
	.loc	1 42 37                         ; attention_bwd.py:42:37 @[ attention_bwd.py:200:26 ]
	s_mul_i32 s12, s10, 12
	v_dual_mov_b32 v25, 0 :: v_dual_mov_b32 v26, 0
	s_wait_alu depctr_sa_sdst(0)
	s_add_co_i32 s60, s46, s12
	.loc	1 58 21                         ; attention_bwd.py:58:21 @[ attention_bwd.py:200:26 ]
	s_and_b32 vcc_lo, exec_lo, s33
	.loc	1 42 19                         ; attention_bwd.py:42:19 @[ attention_bwd.py:200:26 ]
	s_wait_alu depctr_sa_sdst(0)
	s_ashr_i32 s61, s60, 31
	.loc	1 58 21                         ; attention_bwd.py:58:21 @[ attention_bwd.py:200:26 ]
	s_cbranch_vccnz .LBB0_46
; %bb.45:
	.loc	1 42 19                         ; attention_bwd.py:42:19 @[ attention_bwd.py:200:26 ]
	s_wait_alu depctr_sa_sdst(0)
	s_lshl_b64 s[12:13], s[60:61], 1
	s_wait_alu depctr_sa_sdst(0)
	s_add_nc_u64 s[12:13], s[18:19], s[12:13]
	.loc	1 42 50 is_stmt 0               ; attention_bwd.py:42:50 @[ attention_bwd.py:200:26 ]
	s_wait_alu depctr_sa_sdst(0)
	v_add_co_u32 v26, vcc_lo, s12, v244
	s_wait_alu depctr_va_vcc(0)
	v_add_co_ci_u32_e64 v27, null, s13, v245, vcc_lo
	.loc	1 58 21 is_stmt 1               ; attention_bwd.py:58:21 @[ attention_bwd.py:200:26 ]
	global_load_u16 v26, v[26:27], off
.LBB0_46:
	.loc	1 42 37                         ; attention_bwd.py:42:37 @[ attention_bwd.py:200:26 ]
	s_mul_i32 s12, s10, 14
	.loc	1 58 21                         ; attention_bwd.py:58:21 @[ attention_bwd.py:200:26 ]
	s_and_b32 vcc_lo, exec_lo, s33
	.loc	1 42 37                         ; attention_bwd.py:42:37 @[ attention_bwd.py:200:26 ]
	s_wait_alu depctr_sa_sdst(0)
	s_add_co_i32 s62, s46, s12
	.loc	1 42 19 is_stmt 0               ; attention_bwd.py:42:19 @[ attention_bwd.py:200:26 ]
	s_wait_alu depctr_sa_sdst(0)
	s_ashr_i32 s63, s62, 31
	.loc	1 58 21 is_stmt 1               ; attention_bwd.py:58:21 @[ attention_bwd.py:200:26 ]
	s_cbranch_vccnz .LBB0_48
; %bb.47:
	.loc	1 42 19                         ; attention_bwd.py:42:19 @[ attention_bwd.py:200:26 ]
	s_wait_alu depctr_sa_sdst(0)
	s_lshl_b64 s[12:13], s[62:63], 1
	s_wait_alu depctr_sa_sdst(0)
	s_add_nc_u64 s[12:13], s[18:19], s[12:13]
	.loc	1 42 50 is_stmt 0               ; attention_bwd.py:42:50 @[ attention_bwd.py:200:26 ]
	s_wait_alu depctr_sa_sdst(0)
	v_add_co_u32 v27, vcc_lo, s12, v244
	s_wait_alu depctr_va_vcc(0)
	v_add_co_ci_u32_e64 v28, null, s13, v245, vcc_lo
	.loc	1 58 21 is_stmt 1               ; attention_bwd.py:58:21 @[ attention_bwd.py:200:26 ]
	global_load_u16 v25, v[27:28], off
.LBB0_48:
	.loc	1 0 21 is_stmt 0                ; attention_bwd.py:0:21
	v_dual_mov_b32 v27, 0 :: v_dual_mov_b32 v28, 0
	.loc	1 42 37 is_stmt 1               ; attention_bwd.py:42:37 @[ attention_bwd.py:200:26 ]
	s_lshl4_add_u32 s64, s10, s46
	.loc	1 58 21                         ; attention_bwd.py:58:21 @[ attention_bwd.py:200:26 ]
	s_and_b32 vcc_lo, exec_lo, s33
	.loc	1 42 19                         ; attention_bwd.py:42:19 @[ attention_bwd.py:200:26 ]
	s_wait_alu depctr_sa_sdst(0)
	s_ashr_i32 s65, s64, 31
	.loc	1 58 21                         ; attention_bwd.py:58:21 @[ attention_bwd.py:200:26 ]
	s_cbranch_vccnz .LBB0_50
; %bb.49:
	.loc	1 42 19                         ; attention_bwd.py:42:19 @[ attention_bwd.py:200:26 ]
	s_wait_alu depctr_sa_sdst(0)
	s_lshl_b64 s[12:13], s[64:65], 1
	s_wait_alu depctr_sa_sdst(0)
	s_add_nc_u64 s[12:13], s[18:19], s[12:13]
	.loc	1 42 50 is_stmt 0               ; attention_bwd.py:42:50 @[ attention_bwd.py:200:26 ]
	s_wait_alu depctr_sa_sdst(0)
	v_add_co_u32 v28, vcc_lo, s12, v244
	s_wait_alu depctr_va_vcc(0)
	v_add_co_ci_u32_e64 v29, null, s13, v245, vcc_lo
	.loc	1 58 21 is_stmt 1               ; attention_bwd.py:58:21 @[ attention_bwd.py:200:26 ]
	global_load_u16 v28, v[28:29], off
.LBB0_50:
	.loc	1 42 37                         ; attention_bwd.py:42:37 @[ attention_bwd.py:200:26 ]
	s_mul_i32 s12, s10, 18
	.loc	1 58 21                         ; attention_bwd.py:58:21 @[ attention_bwd.py:200:26 ]
	s_and_b32 vcc_lo, exec_lo, s33
	.loc	1 42 37                         ; attention_bwd.py:42:37 @[ attention_bwd.py:200:26 ]
	s_wait_alu depctr_sa_sdst(0)
	s_add_co_i32 s66, s46, s12
	.loc	1 42 19 is_stmt 0               ; attention_bwd.py:42:19 @[ attention_bwd.py:200:26 ]
	s_wait_alu depctr_sa_sdst(0)
	s_ashr_i32 s67, s66, 31
	.loc	1 58 21 is_stmt 1               ; attention_bwd.py:58:21 @[ attention_bwd.py:200:26 ]
	s_cbranch_vccnz .LBB0_52
; %bb.51:
	.loc	1 42 19                         ; attention_bwd.py:42:19 @[ attention_bwd.py:200:26 ]
	s_wait_alu depctr_sa_sdst(0)
	s_lshl_b64 s[12:13], s[66:67], 1
	s_wait_alu depctr_sa_sdst(0)
	s_add_nc_u64 s[12:13], s[18:19], s[12:13]
	.loc	1 42 50 is_stmt 0               ; attention_bwd.py:42:50 @[ attention_bwd.py:200:26 ]
	s_wait_alu depctr_sa_sdst(0)
	v_add_co_u32 v29, vcc_lo, s12, v244
	s_wait_alu depctr_va_vcc(0)
	v_add_co_ci_u32_e64 v30, null, s13, v245, vcc_lo
	.loc	1 58 21 is_stmt 1               ; attention_bwd.py:58:21 @[ attention_bwd.py:200:26 ]
	global_load_u16 v27, v[29:30], off
.LBB0_52:
	.loc	1 42 37                         ; attention_bwd.py:42:37 @[ attention_bwd.py:200:26 ]
	s_mul_i32 s12, s10, 20
	v_dual_mov_b32 v29, 0 :: v_dual_mov_b32 v30, 0
	s_wait_alu depctr_sa_sdst(0)
	s_add_co_i32 s68, s46, s12
	.loc	1 58 21                         ; attention_bwd.py:58:21 @[ attention_bwd.py:200:26 ]
	s_and_b32 vcc_lo, exec_lo, s33
	.loc	1 42 19                         ; attention_bwd.py:42:19 @[ attention_bwd.py:200:26 ]
	s_wait_alu depctr_sa_sdst(0)
	s_ashr_i32 s69, s68, 31
	.loc	1 58 21                         ; attention_bwd.py:58:21 @[ attention_bwd.py:200:26 ]
	s_cbranch_vccnz .LBB0_54
; %bb.53:
	.loc	1 42 19                         ; attention_bwd.py:42:19 @[ attention_bwd.py:200:26 ]
	s_wait_alu depctr_sa_sdst(0)
	s_lshl_b64 s[12:13], s[68:69], 1
	s_wait_alu depctr_sa_sdst(0)
	s_add_nc_u64 s[12:13], s[18:19], s[12:13]
	.loc	1 42 50 is_stmt 0               ; attention_bwd.py:42:50 @[ attention_bwd.py:200:26 ]
	s_wait_alu depctr_sa_sdst(0)
	v_add_co_u32 v30, vcc_lo, s12, v244
	s_wait_alu depctr_va_vcc(0)
	v_add_co_ci_u32_e64 v31, null, s13, v245, vcc_lo
	.loc	1 58 21 is_stmt 1               ; attention_bwd.py:58:21 @[ attention_bwd.py:200:26 ]
	global_load_u16 v30, v[30:31], off
.LBB0_54:
	.loc	1 42 37                         ; attention_bwd.py:42:37 @[ attention_bwd.py:200:26 ]
	s_mul_i32 s12, s10, 22
	.loc	1 58 21                         ; attention_bwd.py:58:21 @[ attention_bwd.py:200:26 ]
	s_and_b32 vcc_lo, exec_lo, s33
	.loc	1 42 37                         ; attention_bwd.py:42:37 @[ attention_bwd.py:200:26 ]
	s_wait_alu depctr_sa_sdst(0)
	s_add_co_i32 s70, s46, s12
	.loc	1 42 19 is_stmt 0               ; attention_bwd.py:42:19 @[ attention_bwd.py:200:26 ]
	s_wait_alu depctr_sa_sdst(0)
	s_ashr_i32 s71, s70, 31
	.loc	1 58 21 is_stmt 1               ; attention_bwd.py:58:21 @[ attention_bwd.py:200:26 ]
	s_cbranch_vccnz .LBB0_56
; %bb.55:
	.loc	1 42 19                         ; attention_bwd.py:42:19 @[ attention_bwd.py:200:26 ]
	s_wait_alu depctr_sa_sdst(0)
	s_lshl_b64 s[12:13], s[70:71], 1
	s_wait_alu depctr_sa_sdst(0)
	s_add_nc_u64 s[12:13], s[18:19], s[12:13]
	.loc	1 42 50 is_stmt 0               ; attention_bwd.py:42:50 @[ attention_bwd.py:200:26 ]
	s_wait_alu depctr_sa_sdst(0)
	v_add_co_u32 v31, vcc_lo, s12, v244
	s_wait_alu depctr_va_vcc(0)
	v_add_co_ci_u32_e64 v32, null, s13, v245, vcc_lo
	.loc	1 58 21 is_stmt 1               ; attention_bwd.py:58:21 @[ attention_bwd.py:200:26 ]
	global_load_u16 v29, v[31:32], off
.LBB0_56:
	.loc	1 42 37                         ; attention_bwd.py:42:37 @[ attention_bwd.py:200:26 ]
	s_mul_i32 s12, s10, 24
	v_dual_mov_b32 v31, 0 :: v_dual_mov_b32 v32, 0
	s_wait_alu depctr_sa_sdst(0)
	s_add_co_i32 s72, s46, s12
	;; [unrolled: 52-line block ×3, first 2 shown]
	.loc	1 58 21                         ; attention_bwd.py:58:21 @[ attention_bwd.py:200:26 ]
	s_and_b32 vcc_lo, exec_lo, s33
	.loc	1 42 19                         ; attention_bwd.py:42:19 @[ attention_bwd.py:200:26 ]
	s_wait_alu depctr_sa_sdst(0)
	s_ashr_i32 s77, s76, 31
	.loc	1 58 21                         ; attention_bwd.py:58:21 @[ attention_bwd.py:200:26 ]
	s_cbranch_vccnz .LBB0_62
; %bb.61:
	.loc	1 42 19                         ; attention_bwd.py:42:19 @[ attention_bwd.py:200:26 ]
	s_wait_alu depctr_sa_sdst(0)
	s_lshl_b64 s[12:13], s[76:77], 1
	s_wait_alu depctr_sa_sdst(0)
	s_add_nc_u64 s[12:13], s[18:19], s[12:13]
	.loc	1 42 50 is_stmt 0               ; attention_bwd.py:42:50 @[ attention_bwd.py:200:26 ]
	s_wait_alu depctr_sa_sdst(0)
	v_add_co_u32 v34, vcc_lo, s12, v244
	s_wait_alu depctr_va_vcc(0)
	v_add_co_ci_u32_e64 v35, null, s13, v245, vcc_lo
	.loc	1 58 21 is_stmt 1               ; attention_bwd.py:58:21 @[ attention_bwd.py:200:26 ]
	global_load_u16 v34, v[34:35], off
.LBB0_62:
	.loc	1 0 21 is_stmt 0                ; attention_bwd.py:0:21
	v_writelane_b32 v250, s4, 4
	v_writelane_b32 v252, s14, 15
	.loc	1 42 37 is_stmt 1               ; attention_bwd.py:42:37 @[ attention_bwd.py:200:26 ]
	s_mul_i32 s16, s10, 30
	.loc	1 58 21                         ; attention_bwd.py:58:21 @[ attention_bwd.py:200:26 ]
	s_and_b32 vcc_lo, exec_lo, s33
	.loc	1 42 37                         ; attention_bwd.py:42:37 @[ attention_bwd.py:200:26 ]
	s_wait_alu depctr_sa_sdst(0)
	s_add_co_i32 s78, s46, s16
	v_writelane_b32 v250, s5, 5
	v_writelane_b32 v252, s15, 16
	.loc	1 42 19 is_stmt 0               ; attention_bwd.py:42:19 @[ attention_bwd.py:200:26 ]
	s_wait_alu depctr_sa_sdst(0)
	s_ashr_i32 s79, s78, 31
	v_writelane_b32 v250, s0, 7
	v_writelane_b32 v252, s6, 17
	;; [unrolled: 1-line block ×4, first 2 shown]
	s_delay_alu instid0(VALU_DEP_2)
	v_readlane_b32 s0, v250, 9
	v_readlane_b32 s1, v250, 10
	s_load_b128 s[12:15], s[0:1], 0x40
	.loc	1 58 21 is_stmt 1               ; attention_bwd.py:58:21 @[ attention_bwd.py:200:26 ]
	s_cbranch_vccnz .LBB0_64
; %bb.63:
	.loc	1 42 19                         ; attention_bwd.py:42:19 @[ attention_bwd.py:200:26 ]
	s_lshl_b64 s[16:17], s[78:79], 1
	s_wait_alu depctr_sa_sdst(0)
	s_add_nc_u64 s[16:17], s[18:19], s[16:17]
	.loc	1 42 50 is_stmt 0               ; attention_bwd.py:42:50 @[ attention_bwd.py:200:26 ]
	s_wait_alu depctr_sa_sdst(0)
	v_add_co_u32 v35, vcc_lo, s16, v244
	s_wait_alu depctr_va_vcc(0)
	v_add_co_ci_u32_e64 v36, null, s17, v245, vcc_lo
	.loc	1 58 21 is_stmt 1               ; attention_bwd.py:58:21 @[ attention_bwd.py:200:26 ]
	global_load_u16 v33, v[35:36], off
.Ltmp33:
.LBB0_64:
	.loc	1 0 21 is_stmt 0                ; attention_bwd.py:0:21
	v_writelane_b32 v252, s18, 19
	.loc	1 171 58 is_stmt 1              ; attention_bwd.py:171:58
	v_lshrrev_b32_e32 v36, 1, v222
	.loc	1 143 22                        ; attention_bwd.py:143:22
	s_mul_i32 s16, vcc_hi, s104
.Ltmp34:
	.loc	1 51 20                         ; attention_bwd.py:51:20 @[ attention_bwd.py:200:26 ]
	v_lshlrev_b32_e32 v35, 1, v222
.Ltmp35:
	.loc	1 143 32                        ; attention_bwd.py:143:32
	s_wait_alu depctr_sa_sdst(0)
	s_ashr_i32 s17, s16, 31
	v_writelane_b32 v252, s19, 20
	scratch_store_b32 off, v36, off offset:1412 ; 4-byte Folded Spill
	.loc	1 171 58                        ; attention_bwd.py:171:58
	v_lshlrev_b32_e32 v36, 2, v36
	.loc	1 155 9                         ; attention_bwd.py:155:9
	s_wait_alu depctr_sa_sdst(0)
	s_lshl_b64 s[44:45], s[16:17], 2
.Ltmp36:
	.loc	1 51 20                         ; attention_bwd.py:51:20 @[ attention_bwd.py:200:26 ]
	v_cndmask_b32_e64 v35, 0x80000000, v35, s3
.Ltmp37:
	.loc	1 155 9                         ; attention_bwd.py:155:9
	s_wait_kmcnt 0x0
	s_wait_alu depctr_sa_sdst(0)
	s_add_nc_u64 s[4:5], s[12:13], s[44:45]
	s_mov_b32 s19, 0x31027000
.Ltmp38:
	.loc	1 51 20                         ; attention_bwd.py:51:20 @[ attention_bwd.py:200:26 ]
	s_wait_alu depctr_sa_sdst(0)
	s_and_b32 s17, s5, 0xffff
	v_writelane_b32 v252, s4, 21
	v_or_b32_e32 v44, 64, v36
	v_or_b32_e32 v37, 4, v36
	;; [unrolled: 1-line block ×9, first 2 shown]
	v_writelane_b32 v252, s5, 22
	v_or_b32_e32 v41, 20, v36
	v_or_b32_e32 v42, 24, v36
	v_or_b32_e32 v43, 28, v36
	v_cndmask_b32_e64 v44, 0x80000000, v44, s3
	v_or_b32_e32 v49, 0x54, v36
	v_or_b32_e32 v50, 0x58, v36
	;; [unrolled: 1-line block ×3, first 2 shown]
	v_cndmask_b32_e64 v37, 0x80000000, v37, s3
	v_cndmask_b32_e64 v45, 0x80000000, v45, s3
	;; [unrolled: 1-line block ×4, first 2 shown]
	s_mov_b32 s18, 0x7ffffffe
.Ltmp39:
	.loc	1 156 9                         ; attention_bwd.py:156:9
	s_add_nc_u64 s[0:1], s[14:15], s[44:45]
.Ltmp40:
	.loc	1 51 20                         ; attention_bwd.py:51:20 @[ attention_bwd.py:200:26 ]
	s_mov_b32 s16, s4
	v_cndmask_b32_e64 v39, 0x80000000, v39, s3
	v_cndmask_b32_e64 v47, 0x80000000, v47, s3
	;; [unrolled: 1-line block ×7, first 2 shown]
	s_clause 0x7
	buffer_load_b32 v205, v35, s[16:19], null offen
	buffer_load_b32 v206, v37, s[16:19], null offen
	;; [unrolled: 1-line block ×8, first 2 shown]
	v_cndmask_b32_e64 v49, 0x80000000, v49, s3
	v_cndmask_b32_e64 v50, 0x80000000, v50, s3
	;; [unrolled: 1-line block ×3, first 2 shown]
	s_clause 0x7
	buffer_load_b32 v128, v44, s[16:19], null offen
	buffer_load_b32 v129, v45, s[16:19], null offen
	;; [unrolled: 1-line block ×8, first 2 shown]
	.loc	1 64 21                         ; attention_bwd.py:64:21 @[ attention_bwd.py:200:26 ]
	s_and_b32 s17, s1, 0xffff
	v_writelane_b32 v252, s0, 23
	s_mov_b32 s16, s0
	s_clause 0xf
	buffer_load_b32 v135, v35, s[16:19], null offen
	buffer_load_b32 v136, v37, s[16:19], null offen
	;; [unrolled: 1-line block ×16, first 2 shown]
	ds_load_b128 v[71:74], v75
	ds_load_b128 v[60:63], v75 offset:8192
	ds_load_b128 v[79:82], v78
	ds_load_b128 v[64:67], v78 offset:8192
	ds_load_b128 v[56:59], v77
	ds_load_b128 v[36:39], v77 offset:8192
	ds_load_b128 v[41:44], v76
	ds_load_b128 v[160:163], v76 offset:8192
.Ltmp41:
	.loc	1 165 36                        ; attention_bwd.py:165:36
	v_and_b32_e32 v35, 0x7f, v225
	.loc	1 191 37                        ; attention_bwd.py:191:37
	s_ashr_i32 s3, vcc_hi, 31
	v_writelane_b32 v252, s1, 24
	s_wait_alu depctr_sa_sdst(0)
	s_lshr_b32 s3, s3, 27
	s_mov_b32 s17, -1
	s_wait_alu depctr_sa_sdst(0)
	s_add_co_i32 s3, vcc_hi, s3
	s_wait_alu depctr_sa_sdst(0)
	s_ashr_i32 s16, s3, 5
.Ltmp42:
	.loc	1 47 25                         ; attention_bwd.py:47:25 @[ attention_bwd.py:200:26 ]
	s_cmp_gt_i32 vcc_hi, 63
	s_cselect_b32 s0, -1, 0
	s_wait_alu depctr_sa_sdst(0)
	v_writelane_b32 v252, s0, 25
	s_and_b32 vcc_lo, exec_lo, s0
	.loc	1 48 21                         ; attention_bwd.py:48:21 @[ attention_bwd.py:200:26 ]
	s_wait_storecnt 0x0
	s_wait_loadcnt_dscnt 0x0
	s_barrier_signal -1
	s_barrier_wait -1
	global_inv scope:SCOPE_SE
	scratch_store_b32 off, v35, off offset:1404 ; 4-byte Folded Spill
	v_lshlrev_b32_e32 v35, 1, v35
	s_delay_alu instid0(VALU_DEP_1)
	v_add_nc_u32_e32 v234, 0, v35
	ds_store_b16 v234, v4
	ds_store_b16 v234, v3 offset:256
	ds_store_b16 v234, v8 offset:512
	;; [unrolled: 1-line block ×15, first 2 shown]
	.loc	1 58 21                         ; attention_bwd.py:58:21 @[ attention_bwd.py:200:26 ]
	ds_store_b16 v234, v6 offset:4096
	ds_store_b16 v234, v5 offset:4352
	;; [unrolled: 1-line block ×16, first 2 shown]
	v_lshlrev_b32_e32 v7, 6, v70
	v_lshlrev_b32_e32 v6, 1, v70
	;; [unrolled: 1-line block ×3, first 2 shown]
	scratch_store_b32 off, v35, off offset:1408 ; 4-byte Folded Spill
                                        ; implicit-def: $vgpr3
                                        ; implicit-def: $vgpr4
                                        ; implicit-def: $vgpr5
	.loc	1 47 25                         ; attention_bwd.py:47:25 @[ attention_bwd.py:200:26 ]
	s_wait_alu depctr_sa_sdst(0)
	s_cbranch_vccnz .LBB0_66
; %bb.65:                               ; %.._crit_edge_crit_edge
	.loc	1 69 26                         ; attention_bwd.py:69:26 @[ attention_bwd.py:200:26 ]
	v_lshlrev_b32_e32 v3, 6, v70
	.loc	1 48 21                         ; attention_bwd.py:48:21 @[ attention_bwd.py:200:26 ]
	v_lshlrev_b32_e32 v4, 1, v70
	v_lshlrev_b32_e32 v5, 5, v222
	s_mov_b32 s17, 0
.LBB0_66:                               ; %Flow1121
	.loc	1 0 21 is_stmt 0                ; attention_bwd.py:0:21
	v_mov_b32_e32 v21, 0
	s_lshl_b32 s18, s10, 5
	s_wait_alu depctr_sa_sdst(0)
	s_and_not1_b32 vcc_lo, exec_lo, s17
	s_add_co_i32 s2, s16, -1
	s_clause 0xb                            ; 124-byte Folded Spill
	scratch_store_b64 off, v[244:245], off offset:1416
	scratch_store_b128 off, v[79:82], off offset:1204
	scratch_store_b128 off, v[71:74], off offset:1188
	;; [unrolled: 1-line block ×6, first 2 shown]
	scratch_store_b32 off, v78, off offset:1400
	scratch_store_b32 off, v77, off offset:1396
	;; [unrolled: 1-line block ×5, first 2 shown]
	s_wait_alu depctr_sa_sdst(0)
	s_cbranch_vccnz .LBB0_70
; %bb.67:                               ; %.lr.ph
	s_ashr_i32 s19, s18, 31
	.loc	1 47 25 is_stmt 1               ; attention_bwd.py:47:25 @[ attention_bwd.py:200:26 ]
	v_lshlrev_b64_e32 v[1:2], 1, v[1:2]
	s_mov_b32 s98, s18
	s_wait_alu depctr_sa_sdst(0)
	s_lshl_b64 s[18:19], s[18:19], 1
	s_lshl_b64 s[36:37], s[78:79], 1
	s_wait_alu depctr_sa_sdst(0)
	s_add_nc_u64 s[16:17], s[54:55], s[18:19]
	s_lshl_b64 s[54:55], s[76:77], 1
	s_wait_alu depctr_sa_sdst(0)
	s_add_nc_u64 s[36:37], s[16:17], s[36:37]
	s_lshl_b64 s[52:53], s[52:53], 1
	s_wait_alu depctr_sa_sdst(0)
	v_add_co_u32 v20, vcc_lo, s36, v1
	s_wait_alu depctr_va_vcc(0)
	v_add_co_ci_u32_e64 v21, null, s37, v2, vcc_lo
	s_add_nc_u64 s[36:37], s[16:17], s[54:55]
	s_lshl_b64 s[54:55], s[74:75], 1
	s_wait_alu depctr_sa_sdst(0)
	v_add_co_u32 v22, vcc_lo, s36, v1
	s_wait_alu depctr_va_vcc(0)
	v_add_co_ci_u32_e64 v23, null, s37, v2, vcc_lo
	;; [unrolled: 6-line block ×13, first 2 shown]
	s_add_nc_u64 s[36:37], s[16:17], s[50:51]
	v_mov_b32_e32 v64, 0
	s_wait_alu depctr_sa_sdst(0)
	v_add_co_u32 v142, vcc_lo, s36, v1
	s_wait_alu depctr_va_vcc(0)
	v_add_co_ci_u32_e64 v143, null, s37, v2, vcc_lo
	s_lshl_b64 s[36:37], s[46:47], 1
	s_add_nc_u64 s[46:47], s[16:17], s[48:49]
	s_wait_alu depctr_sa_sdst(0)
	s_add_nc_u64 s[16:17], s[16:17], s[36:37]
	v_add_co_u32 v174, vcc_lo, s46, v1
	s_wait_alu depctr_va_vcc(0)
	v_add_co_ci_u32_e64 v175, null, s47, v2, vcc_lo
	s_wait_alu depctr_sa_sdst(0)
	v_add_co_u32 v200, vcc_lo, s16, v1
	s_wait_alu depctr_va_vcc(0)
	v_add_co_ci_u32_e64 v225, null, s17, v2, vcc_lo
	v_dual_mov_b32 v2, v96 :: v_dual_mov_b32 v3, v97
	v_dual_mov_b32 v65, v64 :: v_dual_lshlrev_b32 v0, 1, v0
	v_dual_mov_b32 v70, v64 :: v_dual_mov_b32 v9, v64
	v_dual_mov_b32 v10, v64 :: v_dual_mov_b32 v11, v64
	v_dual_mov_b32 v12, v64 :: v_dual_mov_b32 v13, v64
	v_dual_mov_b32 v14, v64 :: v_dual_mov_b32 v15, v64
	v_dual_mov_b32 v16, v64 :: v_dual_mov_b32 v5, v99
	v_dual_mov_b32 v67, v64 :: v_dual_and_b32 v0, 32, v0
	s_clause 0x3                            ; 64-byte Folded Spill
	scratch_store_b128 off, v[9:12], off offset:64
	scratch_store_b128 off, v[13:16], off offset:80
	scratch_store_b128 off, v[235:238], off offset:1268
	scratch_store_b128 off, v[164:167], off offset:1284
	v_add_co_u32 v155, s35, s12, v0
	v_add_co_u32 v164, s14, s14, v0
	v_dual_mov_b32 v56, v64 :: v_dual_mov_b32 v9, v100
	v_add_nc_u32_e32 v0, 0, v222
	v_dual_mov_b32 v58, v64 :: v_dual_mov_b32 v11, v102
	v_dual_mov_b32 v10, v101 :: v_dual_mov_b32 v61, v64
	;; [unrolled: 1-line block ×4, first 2 shown]
	s_clause 0x2                            ; 24-byte Folded Spill
	scratch_store_b32 off, v0, off offset:1356
	scratch_store_b128 off, v[9:12], off offset:1300
	scratch_store_b32 off, v8, off offset:1432
	scratch_load_b64 v[0:1], off, off offset:1364 ; 8-byte Folded Reload
	v_readlane_b32 s0, v252, 15
	v_readlane_b32 s1, v252, 16
	s_add_nc_u64 s[16:17], s[80:81], s[18:19]
	v_dual_mov_b32 v4, v98 :: v_dual_mov_b32 v59, v64
	v_mov_b32_e32 v57, v64
	s_lshl_b64 s[36:37], s[0:1], 1
	v_readlane_b32 s0, v252, 17
	v_readlane_b32 s1, v252, 18
	s_wait_alu depctr_sa_sdst(0)
	s_add_nc_u64 s[4:5], s[16:17], s[36:37]
	v_mov_b32_e32 v60, v64
	v_mov_b32_e32 v62, v64
	s_lshl_b64 s[54:55], s[100:101], 1
	s_lshl_b64 s[46:47], s[0:1], 1
	v_readlane_b32 s0, v250, 4
	v_readlane_b32 s1, v250, 5
	s_wait_alu depctr_sa_sdst(0)
	s_add_nc_u64 s[46:47], s[16:17], s[46:47]
	s_add_nc_u64 s[54:55], s[16:17], s[54:55]
	v_dual_mov_b32 v66, v64 :: v_dual_mov_b32 v69, v64
	s_lshl_b64 s[36:37], s[0:1], 1
	v_readlane_b32 s0, v250, 7
	v_readlane_b32 s1, v250, 8
	s_wait_alu depctr_sa_sdst(0)
	s_add_nc_u64 s[48:49], s[16:17], s[36:37]
	s_lshl_b64 s[36:37], s[102:103], 1
	v_dual_mov_b32 v68, v64 :: v_dual_mov_b32 v71, v64
	s_lshl_b64 s[50:51], s[0:1], 1
	s_wait_alu depctr_sa_sdst(0)
	s_add_nc_u64 s[52:53], s[16:17], s[36:37]
	s_add_nc_u64 s[50:51], s[16:17], s[50:51]
	s_lshl_b64 s[36:37], s[96:97], 1
	v_dual_mov_b32 v184, v201 :: v_dual_mov_b32 v27, v131
	v_mov_b32_e32 v185, v202
	v_mov_b32_e32 v187, v204
	s_clause 0x1d                           ; 480-byte Folded Spill
	scratch_store_b128 off, v[56:59], off offset:128
	scratch_store_b128 off, v[60:63], off offset:144
	;; [unrolled: 1-line block ×30, first 2 shown]
	s_lshl_b64 s[58:59], s[94:95], 1
	s_wait_alu depctr_sa_sdst(0)
	s_add_nc_u64 s[56:57], s[16:17], s[36:37]
	s_add_nc_u64 s[58:59], s[16:17], s[58:59]
	s_lshl_b64 s[36:37], s[90:91], 1
	s_lshl_b64 s[62:63], s[88:89], 1
	s_wait_alu depctr_sa_sdst(0)
	s_add_nc_u64 s[60:61], s[16:17], s[36:37]
	s_add_nc_u64 s[62:63], s[16:17], s[62:63]
	s_lshl_b64 s[36:37], s[86:87], 1
	s_clause 0x1                            ; 32-byte Folded Spill
	scratch_store_b128 off, v[2:5], off offset:1316
	scratch_store_b128 off, v[218:221], off offset:1332
	s_lshl_b64 s[66:67], s[84:85], 1
	s_wait_alu depctr_sa_sdst(0)
	s_add_nc_u64 s[64:65], s[16:17], s[36:37]
	s_add_nc_u64 s[66:67], s[16:17], s[66:67]
	s_lshl_b64 s[36:37], s[42:43], 1
	v_add3_u32 v167, 0, v8, v6
	s_clause 0x2                            ; 12-byte Folded Spill
	scratch_store_b32 off, v247, off offset:1348
	scratch_store_b32 off, v6, off offset:1428
	;; [unrolled: 1-line block ×3, first 2 shown]
	s_lshl_b64 s[70:71], s[40:41], 1
	s_wait_alu depctr_sa_sdst(0)
	s_add_nc_u64 s[68:69], s[16:17], s[36:37]
	s_add_nc_u64 s[70:71], s[16:17], s[70:71]
	s_lshl_b64 s[36:37], s[38:39], 1
	s_lshl_b64 s[72:73], s[24:25], 1
	s_wait_alu depctr_sa_sdst(0)
	s_add_nc_u64 s[74:75], s[16:17], s[36:37]
	s_add_nc_u64 s[72:73], s[16:17], s[72:73]
	v_add_nc_u32_e32 v168, v167, v8
	v_add_co_ci_u32_e64 v48, null, s13, 0, s35
	v_add_co_ci_u32_e64 v90, null, s15, 0, s14
	v_mov_b32_e32 v186, v203
	v_mov_b32_e32 v26, v130
	s_max_i32 s12, s2, 1
	s_clause 0x2                            ; 48-byte Folded Spill
	scratch_store_b128 off, v[176:179], off offset:1220
	scratch_store_b128 off, v[180:183], off offset:1236
	;; [unrolled: 1-line block ×3, first 2 shown]
	s_wait_loadcnt 0x0
	v_add_co_u32 v91, vcc_lo, s4, v0
	s_wait_alu depctr_va_vcc(0)
	v_add_co_ci_u32_e64 v92, null, s5, v1, vcc_lo
	v_add_co_u32 v93, vcc_lo, s46, v0
	s_wait_alu depctr_va_vcc(0)
	v_add_co_ci_u32_e64 v94, null, s47, v1, vcc_lo
	;; [unrolled: 3-line block ×14, first 2 shown]
	s_wait_alu depctr_sa_sdst(0)
	v_add_co_u32 v59, vcc_lo, s74, v0
	s_wait_alu depctr_va_vcc(0)
	v_add_co_ci_u32_e64 v158, null, s75, v1, vcc_lo
	v_add_co_u32 v0, vcc_lo, s72, v0
	s_wait_alu depctr_va_vcc(0)
	v_add_co_ci_u32_e64 v1, null, s73, v1, vcc_lo
.LBB0_68:                               ; =>This Inner Loop Header: Depth=1
	.loc	1 0 25 is_stmt 0                ; attention_bwd.py:0:25
	s_clause 0x1f                           ; 128-byte Folded Spill
	scratch_store_b32 off, v1, off offset:32
	scratch_store_b32 off, v0, off
	scratch_store_b32 off, v15, off offset:804
	scratch_store_b32 off, v19, off offset:788
	;; [unrolled: 1-line block ×30, first 2 shown]
	s_clause 0x4                            ; 20-byte Folded Spill
	scratch_store_b32 off, v28, off offset:592
	scratch_store_b32 off, v23, off offset:588
	;; [unrolled: 1-line block ×5, first 2 shown]
	.loc	1 72 19 is_stmt 1               ; attention_bwd.py:72:19 @[ attention_bwd.py:200:26 ]
	s_clause 0x1                            ; 8-byte Folded Reload
	scratch_load_b32 v0, off, off
	scratch_load_b32 v1, off, off offset:32
	v_dual_mov_b32 v132, v138 :: v_dual_mov_b32 v131, v52
	v_dual_mov_b32 v130, v53 :: v_dual_mov_b32 v129, v54
	v_dual_mov_b32 v128, v55 :: v_dual_mov_b32 v55, v27
	v_dual_mov_b32 v134, v136 :: v_dual_mov_b32 v133, v137
	v_mov_b32_e32 v54, v26
	v_mov_b32_e32 v52, v24
	v_dual_mov_b32 v34, v228 :: v_dual_mov_b32 v39, v150
	.loc	1 47 25                         ; attention_bwd.py:47:25 @[ attention_bwd.py:200:26 ]
	s_add_co_i32 s12, s12, -1
	v_mov_b32_e32 v53, v25
	s_wait_alu depctr_sa_sdst(0)
	s_cmp_lg_u32 s12, 0
	v_dual_mov_b32 v166, v164 :: v_dual_mov_b32 v33, v227
	v_mov_b32_e32 v35, v229
	v_mov_b32_e32 v37, v148
	;; [unrolled: 1-line block ×5, first 2 shown]
	.loc	1 72 19                         ; attention_bwd.py:72:19 @[ attention_bwd.py:200:26 ]
	s_wait_loadcnt 0x1
	v_add_co_u32 v0, vcc_lo, v0, s8
	s_wait_loadcnt 0x0
	s_wait_alu depctr_va_vcc(0)
	v_add_co_ci_u32_e64 v1, null, s9, v1, vcc_lo
	.loc	1 48 21                         ; attention_bwd.py:48:21 @[ attention_bwd.py:200:26 ]
	global_load_u16 v0, v[0:1], off
	.loc	1 72 19                         ; attention_bwd.py:72:19 @[ attention_bwd.py:200:26 ]
	s_wait_loadcnt 0x0
	scratch_store_b32 off, v0, off offset:820 ; 4-byte Folded Spill
	v_add_co_u32 v0, vcc_lo, v59, s8
	s_wait_alu depctr_va_vcc(0)
	v_add_co_ci_u32_e64 v1, null, s9, v158, vcc_lo
	.loc	1 48 21                         ; attention_bwd.py:48:21 @[ attention_bwd.py:200:26 ]
	global_load_u16 v0, v[0:1], off
	.loc	1 72 19                         ; attention_bwd.py:72:19 @[ attention_bwd.py:200:26 ]
	s_wait_loadcnt 0x0
	scratch_store_b32 off, v0, off offset:836 ; 4-byte Folded Spill
	v_add_co_u32 v0, vcc_lo, v57, s8
	;; [unrolled: 8-line block ×15, first 2 shown]
	s_wait_alu depctr_va_vcc(0)
	v_add_co_ci_u32_e64 v1, null, s9, v92, vcc_lo
	.loc	1 48 21                         ; attention_bwd.py:48:21 @[ attention_bwd.py:200:26 ]
	global_load_u16 v0, v[0:1], off
	.loc	1 69 26                         ; attention_bwd.py:69:26 @[ attention_bwd.py:200:26 ]
	s_wait_loadcnt 0x0
	scratch_store_b32 off, v0, off offset:988 ; 4-byte Folded Spill
	s_wait_storecnt_dscnt 0x0
	s_barrier_signal -1
	s_barrier_wait -1
	global_inv scope:SCOPE_SE
	.loc	1 66 24                         ; attention_bwd.py:66:24 @[ attention_bwd.py:200:26 ]
	s_clause 0x14                           ; 312-byte Folded Reload
	scratch_load_b32 v0, off, off offset:1348
	scratch_load_b32 v83, off, off offset:1356
	scratch_load_b128 v[71:74], off, off offset:1188
	scratch_load_b128 v[75:78], off, off offset:1204
	;; [unrolled: 1-line block ×7, first 2 shown]
	scratch_load_b128 v[192:195], off, off offset:480 th:TH_LOAD_LU
	scratch_load_b128 v[196:199], off, off offset:496 th:TH_LOAD_LU
	;; [unrolled: 1-line block ×12, first 2 shown]
	s_wait_loadcnt 0x13
	v_add_nc_u32_e32 v32, v83, v0
	ds_load_b128 v[24:27], v32 offset:4096
	ds_load_b128 v[28:31], v32 offset:4128
	;; [unrolled: 1-line block ×4, first 2 shown]
	s_wait_loadcnt_dscnt 0x1203
	v_wmma_f32_16x16x16_f16 v[0:7], v[24:27], v[71:74], 0
	s_wait_loadcnt_dscnt 0x1102
	s_delay_alu instid0(VALU_DEP_1) | instskip(SKIP_1) | instid1(VALU_DEP_1)
	v_wmma_f32_16x16x16_f16 v[0:7], v[28:31], v[75:78], v[0:7]
	s_wait_loadcnt_dscnt 0x1001
	v_wmma_f32_16x16x16_f16 v[0:7], v[136:139], v[67:70], v[0:7]
	s_wait_dscnt 0x0
	s_delay_alu instid0(VALU_DEP_1) | instskip(NEXT) | instid1(VALU_DEP_1)
	v_wmma_f32_16x16x16_f16 v[0:7], v[140:143], v[41:44], v[0:7]
	.loc	1 67 26                         ; attention_bwd.py:67:26 @[ attention_bwd.py:200:26 ]
	v_sub_f32_e32 v173, v2, v133
	s_delay_alu instid0(VALU_DEP_2) | instskip(NEXT) | instid1(VALU_DEP_3)
	v_dual_sub_f32 v247, v3, v132 :: v_dual_sub_f32 v164, v4, v131
	v_dual_sub_f32 v248, v5, v130 :: v_dual_sub_f32 v223, v6, v129
	s_delay_alu instid0(VALU_DEP_4)
	v_sub_f32_e32 v226, v7, v128
	scratch_load_b128 v[4:7], off, off offset:1156 ; 16-byte Folded Reload
	v_sub_f32_e32 v249, v0, v135
	v_sub_f32_e32 v99, v1, v134
	scratch_load_b128 v[0:3], off, off offset:1124 ; 16-byte Folded Reload
	.loc	1 66 24                         ; attention_bwd.py:66:24 @[ attention_bwd.py:200:26 ]
	s_wait_loadcnt 0x1
	v_wmma_f32_16x16x16_f16 v[16:23], v[24:27], v[4:7], 0
	s_delay_alu instid0(VALU_DEP_1) | instskip(SKIP_4) | instid1(VALU_DEP_1)
	v_wmma_f32_16x16x16_f16 v[16:23], v[28:31], v[79:82], v[16:23]
	ds_load_b128 v[24:27], v32 offset:6144
	ds_load_b128 v[28:31], v32 offset:6176
	s_wait_loadcnt 0x0
	v_wmma_f32_16x16x16_f16 v[16:23], v[136:139], v[0:3], v[16:23]
	v_wmma_f32_16x16x16_f16 v[16:23], v[140:143], v[160:163], v[16:23]
	s_delay_alu instid0(VALU_DEP_1) | instskip(NEXT) | instid1(VALU_DEP_2)
	.loc	1 67 26                         ; attention_bwd.py:67:26 @[ attention_bwd.py:200:26 ]
	v_dual_sub_f32 v87, v16, v135 :: v_dual_sub_f32 v84, v17, v134
	v_dual_sub_f32 v85, v19, v132 :: v_dual_sub_f32 v96, v18, v133
	s_delay_alu instid0(VALU_DEP_3) | instskip(NEXT) | instid1(VALU_DEP_4)
	v_dual_sub_f32 v97, v20, v131 :: v_dual_sub_f32 v86, v21, v130
	v_sub_f32_e32 v98, v22, v129
	v_sub_f32_e32 v88, v23, v128
	.loc	1 66 24                         ; attention_bwd.py:66:24 @[ attention_bwd.py:200:26 ]
	ds_load_b128 v[128:131], v32 offset:6208
	ds_load_b128 v[132:135], v32 offset:6240
	s_wait_dscnt 0x3
	v_wmma_f32_16x16x16_f16 v[16:23], v[24:27], v[71:74], 0
	s_wait_dscnt 0x2
	s_delay_alu instid0(VALU_DEP_1) | instskip(SKIP_1) | instid1(VALU_DEP_1)
	v_wmma_f32_16x16x16_f16 v[16:23], v[28:31], v[75:78], v[16:23]
	s_wait_dscnt 0x1
	v_wmma_f32_16x16x16_f16 v[16:23], v[128:131], v[67:70], v[16:23]
	s_wait_dscnt 0x0
	s_delay_alu instid0(VALU_DEP_1) | instskip(SKIP_2) | instid1(VALU_DEP_3)
	v_wmma_f32_16x16x16_f16 v[16:23], v[132:135], v[41:44], v[16:23]
	v_mov_b32_e32 v36, v230
	v_mov_b32_e32 v40, v151
	v_dual_mov_b32 v38, v149 :: v_dual_sub_f32 v15, v16, v33
	.loc	1 67 26                         ; attention_bwd.py:67:26 @[ attention_bwd.py:200:26 ]
	scratch_store_b32 off, v15, off offset:1084 ; 4-byte Folded Spill
	v_sub_f32_e32 v15, v17, v34
	scratch_store_b32 off, v15, off offset:1012 ; 4-byte Folded Spill
	v_sub_f32_e32 v15, v18, v35
	;; [unrolled: 2-line block ×7, first 2 shown]
	.loc	1 66 24                         ; attention_bwd.py:66:24 @[ attention_bwd.py:200:26 ]
	v_wmma_f32_16x16x16_f16 v[16:23], v[24:27], v[4:7], 0
	scratch_load_b128 v[4:7], off, off offset:1236 ; 16-byte Folded Reload
	v_wmma_f32_16x16x16_f16 v[16:23], v[28:31], v[79:82], v[16:23]
	v_mov_b32_e32 v80, v48
	s_clause 0x2                            ; 48-byte Folded Reload
	scratch_load_b128 v[48:51], off, off offset:1332
	scratch_load_b128 v[72:75], off, off offset:288 th:TH_LOAD_LU
	scratch_load_b128 v[76:79], off, off offset:304 th:TH_LOAD_LU
	v_wmma_f32_16x16x16_f16 v[16:23], v[128:131], v[0:3], v[16:23]
	s_delay_alu instid0(VALU_DEP_1)
	v_wmma_f32_16x16x16_f16 v[16:23], v[132:135], v[160:163], v[16:23]
	.loc	1 48 21                         ; attention_bwd.py:48:21 @[ attention_bwd.py:200:26 ]
	ds_load_u16 v128, v167
	ds_load_u16 v129, v167 offset:128
	ds_load_u16 v130, v167 offset:256
	;; [unrolled: 1-line block ×19, first 2 shown]
	s_wait_dscnt 0x4
	ds_load_u16_d16_hi v146, v167 offset:2400
	ds_load_u16_d16_hi v134, v167 offset:1344
	.loc	1 58 21                         ; attention_bwd.py:58:21 @[ attention_bwd.py:200:26 ]
	ds_load_u16 v27, v168 offset:4192
	ds_load_u16 v203, v168 offset:4096
	.loc	1 48 21                         ; attention_bwd.py:48:21 @[ attention_bwd.py:200:26 ]
	ds_load_u16_d16_hi v140, v167 offset:3136
	s_wait_dscnt 0x7
	ds_load_u16_d16_hi v133, v167 offset:1216
	s_wait_dscnt 0x7
	ds_load_u16_d16_hi v148, v167 offset:1120
	ds_load_u16 v31, v167 offset:416
	ds_load_u16 v28, v167 offset:32
	ds_load_u16_d16_hi v128, v167 offset:64
	ds_load_u16_d16_hi v129, v167 offset:192
	ds_load_u16 v30, v167 offset:288
	ds_load_u16 v29, v167 offset:160
	ds_load_u16_d16_hi v135, v167 offset:1472
	ds_load_u16 v144, v167 offset:2080
	ds_load_u16 v151, v167 offset:1440
	;; [unrolled: 1-line block ×4, first 2 shown]
	ds_load_u16_d16_hi v141, v167 offset:3264
	.loc	1 67 26                         ; attention_bwd.py:67:26 @[ attention_bwd.py:200:26 ]
	v_sub_f32_e32 v0, v16, v33
	v_dual_mov_b32 v16, v207 :: v_dual_mov_b32 v207, v208
	scratch_store_b32 off, v0, off offset:1036 ; 4-byte Folded Spill
	v_sub_f32_e32 v0, v17, v34
	.loc	1 66 24                         ; attention_bwd.py:66:24 @[ attention_bwd.py:200:26 ]
	scratch_store_b32 off, v15, off offset:1092 ; 4-byte Folded Spill
	scratch_load_b128 v[12:15], off, off offset:1316 ; 16-byte Folded Reload
	v_mov_b32_e32 v17, v206
	.loc	1 67 26                         ; attention_bwd.py:67:26 @[ attention_bwd.py:200:26 ]
	scratch_store_b32 off, v0, off offset:996 ; 4-byte Folded Spill
	v_sub_f32_e32 v0, v18, v35
	v_dual_mov_b32 v18, v205 :: v_dual_mov_b32 v205, v170
	scratch_store_b32 off, v0, off offset:1052 ; 4-byte Folded Spill
	v_sub_f32_e32 v0, v19, v36
	.loc	1 58 21                         ; attention_bwd.py:58:21 @[ attention_bwd.py:200:26 ]
	s_wait_dscnt 0x10
	ds_load_u16_d16_hi v27, v168 offset:4320
	.loc	1 48 21                         ; attention_bwd.py:48:21 @[ attention_bwd.py:200:26 ]
	ds_load_u16 v35, v167 offset:3488
	.loc	1 58 21                         ; attention_bwd.py:58:21 @[ attention_bwd.py:200:26 ]
	ds_load_u16 v36, v168 offset:4128
	;; [unrolled: 2-line block ×3, first 2 shown]
	ds_load_u16 v33, v167 offset:3232
	ds_load_u16 v32, v167 offset:3104
	ds_load_u16_d16_hi v132, v167 offset:1088
	ds_load_u16_d16_hi v130, v167 offset:320
	;; [unrolled: 1-line block ×3, first 2 shown]
	s_wait_dscnt 0x14
	ds_load_u16_d16_hi v31, v167 offset:480
	ds_load_u16_d16_hi v138, v167 offset:2368
	;; [unrolled: 1-line block ×8, first 2 shown]
	.loc	1 67 26                         ; attention_bwd.py:67:26 @[ attention_bwd.py:200:26 ]
	scratch_store_b32 off, v0, off offset:1004 ; 4-byte Folded Spill
	v_sub_f32_e32 v0, v20, v37
	scratch_store_b32 off, v0, off offset:1060 ; 4-byte Folded Spill
	v_sub_f32_e32 v0, v21, v38
	scratch_store_b32 off, v0, off offset:1020 ; 4-byte Folded Spill
	v_sub_f32_e32 v0, v22, v39
	scratch_store_b32 off, v0, off offset:1068 ; 4-byte Folded Spill
	v_sub_f32_e32 v0, v23, v40
	.loc	1 52 24                         ; attention_bwd.py:52:24 @[ attention_bwd.py:200:26 ]
	s_wait_dscnt 0x8
	v_wmma_f32_16x16x16_f16 v[19:26], v[128:131], v[235:238], 0
	.loc	1 48 21                         ; attention_bwd.py:48:21 @[ attention_bwd.py:200:26 ]
	ds_load_u16_d16_hi v35, v167 offset:3552
	ds_load_u16_d16_hi v28, v167 offset:96
	;; [unrolled: 1-line block ×10, first 2 shown]
	.loc	1 58 21                         ; attention_bwd.py:58:21 @[ attention_bwd.py:200:26 ]
	ds_load_u16_d16_hi v36, v168 offset:4256
	ds_load_u16 v40, v168 offset:4160
	.loc	1 48 21                         ; attention_bwd.py:48:21 @[ attention_bwd.py:200:26 ]
	ds_load_u16_d16_hi v34, v167 offset:3424
	ds_load_u16_d16_hi v33, v167 offset:3296
	scratch_store_b32 off, v0, off offset:1044 ; 4-byte Folded Spill
	scratch_load_b128 v[0:3], off, off offset:1220 ; 16-byte Folded Reload
	.loc	1 52 24                         ; attention_bwd.py:52:24 @[ attention_bwd.py:200:26 ]
	s_wait_loadcnt 0x4
	v_wmma_f32_16x16x16_f16 v[19:26], v[132:135], v[48:51], v[19:26]
	s_wait_dscnt 0x11
	s_delay_alu instid0(VALU_DEP_1) | instskip(SKIP_1) | instid1(VALU_DEP_1)
	v_wmma_f32_16x16x16_f16 v[19:26], v[136:139], v[4:7], v[19:26]
	s_wait_loadcnt_dscnt 0x10e
	v_wmma_f32_16x16x16_f16 v[19:26], v[140:143], v[12:15], v[19:26]
	v_mov_b32_e32 v206, v169
	v_mov_b32_e32 v202, v171
	v_dual_mov_b32 v172, v44 :: v_dual_mov_b32 v171, v43
	s_delay_alu instid0(VALU_DEP_4)
	.loc	1 53 32                         ; attention_bwd.py:53:32 @[ attention_bwd.py:200:26 ]
	v_dual_sub_f32 v37, v19, v18 :: v_dual_sub_f32 v38, v20, v17
	v_dual_sub_f32 v39, v21, v16 :: v_dual_mov_b32 v170, v42
	v_mov_b32_e32 v169, v41
	v_dual_sub_f32 v41, v22, v207 :: v_dual_sub_f32 v42, v23, v206
	v_sub_f32_e32 v45, v26, v201
	v_dual_sub_f32 v43, v24, v205 :: v_dual_sub_f32 v44, v25, v202
	.loc	1 52 24                         ; attention_bwd.py:52:24 @[ attention_bwd.py:200:26 ]
	v_wmma_f32_16x16x16_f16 v[19:26], v[128:131], v[8:11], 0
	.loc	1 53 26                         ; attention_bwd.py:53:26 @[ attention_bwd.py:200:26 ]
	v_exp_f32_e32 v38, v38
	v_mov_b32_e32 v129, v53
	v_mov_b32_e32 v131, v55
	s_delay_alu instid0(VALU_DEP_3) | instskip(SKIP_3) | instid1(VALU_DEP_3)
	.loc	1 52 24                         ; attention_bwd.py:52:24 @[ attention_bwd.py:200:26 ]
	v_wmma_f32_16x16x16_f16 v[19:26], v[132:135], v[217:220], v[19:26]
	v_mov_b32_e32 v133, v185
	v_mov_b32_e32 v135, v187
	s_wait_loadcnt 0x0
	v_wmma_f32_16x16x16_f16 v[19:26], v[136:139], v[0:3], v[19:26]
	scratch_load_b128 v[136:139], off, off offset:1300 ; 16-byte Folded Reload
	s_wait_loadcnt 0x0
	v_wmma_f32_16x16x16_f16 v[19:26], v[140:143], v[136:139], v[19:26]
	s_delay_alu instid0(VALU_DEP_1) | instskip(NEXT) | instid1(VALU_DEP_2)
	v_dual_mov_b32 v174, v46 :: v_dual_sub_f32 v25, v25, v202
	.loc	1 53 32                         ; attention_bwd.py:53:32 @[ attention_bwd.py:200:26 ]
	v_dual_sub_f32 v46, v19, v18 :: v_dual_sub_f32 v141, v22, v207
	s_delay_alu instid0(VALU_DEP_3) | instskip(NEXT) | instid1(VALU_DEP_4)
	v_sub_f32_e32 v222, v20, v17
	v_sub_f32_e32 v140, v21, v16
	;; [unrolled: 1-line block ×3, first 2 shown]
	.loc	1 52 24                         ; attention_bwd.py:52:24 @[ attention_bwd.py:200:26 ]
	s_wait_dscnt 0xa
	v_wmma_f32_16x16x16_f16 v[16:23], v[28:31], v[235:238], 0
	.loc	1 53 32                         ; attention_bwd.py:53:32 @[ attention_bwd.py:200:26 ]
	v_sub_f32_e32 v24, v24, v205
	.loc	1 53 26 is_stmt 0               ; attention_bwd.py:53:26 @[ attention_bwd.py:200:26 ]
	v_exp_f32_e32 v46, v46
	v_exp_f32_e32 v140, v140
	.loc	1 52 24 is_stmt 1               ; attention_bwd.py:52:24 @[ attention_bwd.py:200:26 ]
	s_wait_dscnt 0x6
	v_wmma_f32_16x16x16_f16 v[16:23], v[148:151], v[48:51], v[16:23]
	s_clause 0x1                            ; 32-byte Folded Reload
	scratch_load_b128 v[235:238], off, off offset:96 th:TH_LOAD_LU
	scratch_load_b128 v[239:242], off, off offset:112 th:TH_LOAD_LU
	s_wait_dscnt 0x5
	v_wmma_f32_16x16x16_f16 v[16:23], v[144:147], v[4:7], v[16:23]
	.loc	1 53 26                         ; attention_bwd.py:53:26 @[ attention_bwd.py:200:26 ]
	v_exp_f32_e32 v5, v142
	v_exp_f32_e32 v6, v25
	;; [unrolled: 1-line block ×4, first 2 shown]
	.loc	1 52 24                         ; attention_bwd.py:52:24 @[ attention_bwd.py:200:26 ]
	s_wait_dscnt 0x0
	v_wmma_f32_16x16x16_f16 v[16:23], v[32:35], v[12:15], v[16:23]
	v_mov_b32_e32 v128, v52
	.loc	1 53 32                         ; attention_bwd.py:53:32 @[ attention_bwd.py:200:26 ]
	v_sub_f32_e32 v26, v26, v201
	v_mov_b32_e32 v130, v54
	.loc	1 53 26 is_stmt 0               ; attention_bwd.py:53:26 @[ attention_bwd.py:200:26 ]
	v_exp_f32_e32 v25, v222
	.loc	1 53 32                         ; attention_bwd.py:53:32 @[ attention_bwd.py:200:26 ]
	v_dual_sub_f32 v201, v17, v129 :: v_dual_mov_b32 v134, v186
	v_mov_b32_e32 v132, v184
	v_sub_f32_e32 v143, v16, v128
	v_dual_sub_f32 v207, v19, v131 :: v_dual_sub_f32 v202, v18, v130
	s_delay_alu instid0(VALU_DEP_4) | instskip(NEXT) | instid1(VALU_DEP_4)
	v_dual_sub_f32 v48, v21, v133 :: v_dual_sub_f32 v49, v22, v134
	v_sub_f32_e32 v208, v20, v132
	v_sub_f32_e32 v50, v23, v135
	.loc	1 52 24 is_stmt 1               ; attention_bwd.py:52:24 @[ attention_bwd.py:200:26 ]
	v_wmma_f32_16x16x16_f16 v[16:23], v[28:31], v[8:11], 0
	.loc	1 53 26                         ; attention_bwd.py:53:26 @[ attention_bwd.py:200:26 ]
	v_exp_f32_e32 v29, v39
	v_exp_f32_e32 v30, v42
	;; [unrolled: 1-line block ×3, first 2 shown]
	s_delay_alu instid0(VALU_DEP_1)
	.loc	1 52 24                         ; attention_bwd.py:52:24 @[ attention_bwd.py:200:26 ]
	v_wmma_f32_16x16x16_f16 v[16:23], v[148:151], v[217:220], v[16:23]
	.loc	1 53 26                         ; attention_bwd.py:53:26 @[ attention_bwd.py:200:26 ]
	v_exp_f32_e32 v39, v45
	v_exp_f32_e32 v45, v43
	s_clause 0x1                            ; 32-byte Folded Reload
	scratch_load_b128 v[184:187], off, off offset:256 th:TH_LOAD_LU
	scratch_load_b128 v[188:191], off, off offset:272 th:TH_LOAD_LU
	v_exp_f32_e32 v37, v44
	.loc	1 52 24                         ; attention_bwd.py:52:24 @[ attention_bwd.py:200:26 ]
	v_wmma_f32_16x16x16_f16 v[16:23], v[144:147], v[0:3], v[16:23]
	.loc	1 69 26                         ; attention_bwd.py:69:26 @[ attention_bwd.py:200:26 ]
	scratch_load_b32 v0, off, off offset:1352 ; 4-byte Folded Reload
	.loc	1 53 26                         ; attention_bwd.py:53:26 @[ attention_bwd.py:200:26 ]
	v_exp_f32_e32 v146, v41
	v_exp_f32_e32 v7, v26
	scratch_load_b32 v142, off, off offset:700 th:TH_LOAD_LU ; 4-byte Folded Reload
	.loc	1 52 24                         ; attention_bwd.py:52:24 @[ attention_bwd.py:200:26 ]
	v_wmma_f32_16x16x16_f16 v[16:23], v[32:35], v[136:139], v[16:23]
	.loc	1 61 21                         ; attention_bwd.py:61:21 @[ attention_bwd.py:200:26 ]
	v_cvt_f16_f32_e32 v2, v39
	v_cvt_f16_f32_e32 v1, v37
	s_delay_alu instid0(VALU_DEP_3)
	.loc	1 53 32                         ; attention_bwd.py:53:32 @[ attention_bwd.py:200:26 ]
	v_dual_sub_f32 v51, v17, v129 :: v_dual_sub_f32 v52, v18, v130
	.loc	1 68 21                         ; attention_bwd.py:68:21 @[ attention_bwd.py:200:26 ]
	v_fma_mixlo_f16 v17, v29, v173, 0
	v_fma_mixlo_f16 v18, v30, v164, 0
	.loc	1 53 32                         ; attention_bwd.py:53:32 @[ attention_bwd.py:200:26 ]
	v_sub_f32_e32 v35, v16, v128
	v_sub_f32_e32 v54, v20, v132
	;; [unrolled: 1-line block ×3, first 2 shown]
	.loc	1 68 21                         ; attention_bwd.py:68:21 @[ attention_bwd.py:200:26 ]
	v_fma_mixlo_f16 v16, v28, v249, 0
	.loc	1 69 26                         ; attention_bwd.py:69:26 @[ attention_bwd.py:200:26 ]
	v_fma_mixhi_f16 v18, v45, v248, 0
	v_fma_mixhi_f16 v17, v146, v247, 0
	v_mov_b32_e32 v173, v56
	v_dual_mov_b32 v247, v57 :: v_dual_mov_b32 v248, v58
	v_mov_b32_e32 v249, v59
	s_clause 0x1                            ; 32-byte Folded Reload
	scratch_load_b128 v[56:59], off, off offset:512 th:TH_LOAD_LU
	scratch_load_b128 v[60:63], off, off offset:528 th:TH_LOAD_LU
	.loc	1 53 32                         ; attention_bwd.py:53:32 @[ attention_bwd.py:200:26 ]
	v_sub_f32_e32 v53, v19, v131
	.loc	1 68 21                         ; attention_bwd.py:68:21 @[ attention_bwd.py:200:26 ]
	v_fma_mixlo_f16 v19, v37, v223, 0
	.loc	1 53 32                         ; attention_bwd.py:53:32 @[ attention_bwd.py:200:26 ]
	v_sub_f32_e32 v55, v21, v133
	v_sub_f32_e32 v145, v23, v135
	.loc	1 69 26                         ; attention_bwd.py:69:26 @[ attention_bwd.py:200:26 ]
	v_fma_mixhi_f16 v16, v38, v99, 0
	v_mov_b32_e32 v164, v166
	v_fma_mixhi_f16 v19, v39, v226, 0
	s_clause 0x1                            ; 32-byte Folded Reload
	scratch_load_b128 v[226:229], off, off offset:224 th:TH_LOAD_LU
	scratch_load_b128 v[230:233], off, off offset:240 th:TH_LOAD_LU
	v_mov_b32_e32 v166, v66
	s_clause 0x1                            ; 32-byte Folded Reload
	scratch_load_b128 v[64:67], off, off offset:192 th:TH_LOAD_LU
	scratch_load_b128 v[68:71], off, off offset:208 th:TH_LOAD_LU
	.loc	1 62 26                         ; attention_bwd.py:62:26 @[ attention_bwd.py:200:26 ]
	v_pack_b32_f16 v3, v1, v2
	.loc	1 61 21                         ; attention_bwd.py:61:21 @[ attention_bwd.py:200:26 ]
	v_cvt_f16_f32_e64 v1, v146
	.loc	1 69 26                         ; attention_bwd.py:69:26 @[ attention_bwd.py:200:26 ]
	s_wait_loadcnt 0x7
	v_add_nc_u32_e32 v136, v83, v0
	ds_load_b128 v[8:11], v136
	ds_load_b128 v[12:15], v136 offset:32
	ds_load_b128 v[20:23], v136 offset:1024
	;; [unrolled: 1-line block ×7, first 2 shown]
	.loc	1 61 21                         ; attention_bwd.py:61:21 @[ attention_bwd.py:200:26 ]
	v_cvt_f16_f32_e32 v0, v30
	.loc	1 69 26                         ; attention_bwd.py:69:26 @[ attention_bwd.py:200:26 ]
	s_wait_dscnt 0x7
	v_wmma_f32_16x16x16_f16 v[192:199], v[8:11], v[16:19], v[192:199]
	s_wait_loadcnt_dscnt 0x405
	v_wmma_f32_16x16x16_f16 v[56:63], v[20:23], v[16:19], v[56:63]
	s_wait_dscnt 0x3
	v_wmma_f32_16x16x16_f16 v[184:191], v[41:44], v[16:19], v[184:191]
	s_wait_dscnt 0x1
	v_wmma_f32_16x16x16_f16 v[72:79], v[132:135], v[16:19], v[72:79]
	.loc	1 68 21                         ; attention_bwd.py:68:21 @[ attention_bwd.py:200:26 ]
	v_fma_mixlo_f16 v16, v46, v87, 0
	v_fma_mixlo_f16 v17, v140, v96, 0
	;; [unrolled: 1-line block ×4, first 2 shown]
	.loc	1 61 21                         ; attention_bwd.py:61:21 @[ attention_bwd.py:200:26 ]
	v_cvt_f16_f32_e32 v5, v5
	.loc	1 69 26                         ; attention_bwd.py:69:26 @[ attention_bwd.py:200:26 ]
	v_fma_mixhi_f16 v16, v25, v84, 0
	v_fma_mixhi_f16 v17, v24, v85, 0
	;; [unrolled: 1-line block ×4, first 2 shown]
	s_clause 0x1                            ; 32-byte Folded Reload
	scratch_load_b128 v[81:84], off, off offset:160 th:TH_LOAD_LU
	scratch_load_b128 v[85:88], off, off offset:176 th:TH_LOAD_LU
	.loc	1 61 21                         ; attention_bwd.py:61:21 @[ attention_bwd.py:200:26 ]
	v_cvt_f16_f32_e32 v6, v6
	v_cvt_f16_f32_e32 v7, v7
	;; [unrolled: 1-line block ×3, first 2 shown]
	s_clause 0x1                            ; 32-byte Folded Reload
	scratch_load_b128 v[96:99], off, off offset:352 th:TH_LOAD_LU
	scratch_load_b128 v[100:103], off, off offset:368 th:TH_LOAD_LU
	.loc	1 69 26                         ; attention_bwd.py:69:26 @[ attention_bwd.py:200:26 ]
	s_wait_loadcnt 0x6
	v_wmma_f32_16x16x16_f16 v[226:233], v[8:11], v[16:19], v[226:233]
	.loc	1 61 21                         ; attention_bwd.py:61:21 @[ attention_bwd.py:200:26 ]
	v_cvt_f16_f32_e32 v8, v45
	.loc	1 62 26                         ; attention_bwd.py:62:26 @[ attention_bwd.py:200:26 ]
	v_pack_b32_f16 v7, v6, v7
	v_pack_b32_f16 v6, v5, v4
	.loc	1 61 21                         ; attention_bwd.py:61:21 @[ attention_bwd.py:200:26 ]
	v_cvt_f16_f32_e64 v4, v140
	v_cvt_f16_f32_e32 v5, v24
	.loc	1 62 26                         ; attention_bwd.py:62:26 @[ attention_bwd.py:200:26 ]
	v_pack_b32_f16 v2, v0, v8
	.loc	1 61 21                         ; attention_bwd.py:61:21 @[ attention_bwd.py:200:26 ]
	v_cvt_f16_f32_e32 v0, v29
	v_cvt_f16_f32_e32 v8, v38
	.loc	1 69 26                         ; attention_bwd.py:69:26 @[ attention_bwd.py:200:26 ]
	v_wmma_f32_16x16x16_f16 v[176:183], v[20:23], v[16:19], v[176:183]
	.loc	1 62 26                         ; attention_bwd.py:62:26 @[ attention_bwd.py:200:26 ]
	v_pack_b32_f16 v5, v4, v5
	.loc	1 61 21                         ; attention_bwd.py:61:21 @[ attention_bwd.py:200:26 ]
	v_cvt_f16_f32_e32 v4, v46
	v_mov_b32_e32 v46, v174
	v_mov_b32_e32 v174, v221
	s_clause 0x1                            ; 32-byte Folded Reload
	scratch_load_b128 v[217:220], off, off offset:544 th:TH_LOAD_LU
	scratch_load_b128 v[221:224], off, off offset:560 th:TH_LOAD_LU
	.loc	1 62 26                         ; attention_bwd.py:62:26 @[ attention_bwd.py:200:26 ]
	v_pack_b32_f16 v1, v0, v1
	.loc	1 61 21                         ; attention_bwd.py:61:21 @[ attention_bwd.py:200:26 ]
	v_cvt_f16_f32_e32 v0, v28
	.loc	1 69 26                         ; attention_bwd.py:69:26 @[ attention_bwd.py:200:26 ]
	s_wait_loadcnt 0x6
	v_wmma_f32_16x16x16_f16 v[64:71], v[41:44], v[16:19], v[64:71]
	.loc	1 58 21                         ; attention_bwd.py:58:21 @[ attention_bwd.py:200:26 ]
	ds_load_u16 v37, v168 offset:4384
	ds_load_u16 v41, v168 offset:4416
	ds_load_u16_d16_hi v40, v168 offset:4288
	s_wait_dscnt 0x2
	ds_load_u16_d16_hi v37, v168 offset:4512
	s_wait_dscnt 0x2
	ds_load_u16_d16_hi v41, v168 offset:4544
	.loc	1 62 26                         ; attention_bwd.py:62:26 @[ attention_bwd.py:200:26 ]
	v_pack_b32_f16 v0, v0, v8
	.loc	1 61 21                         ; attention_bwd.py:61:21 @[ attention_bwd.py:200:26 ]
	v_cvt_f16_f32_e32 v8, v25
	.loc	1 53 26                         ; attention_bwd.py:53:26 @[ attention_bwd.py:200:26 ]
	v_exp_f32_e32 v9, v50
	v_exp_f32_e32 v22, v144
	;; [unrolled: 1-line block ×4, first 2 shown]
	.loc	1 62 26                         ; attention_bwd.py:62:26 @[ attention_bwd.py:200:26 ]
	v_pack_b32_f16 v4, v4, v8
	v_mov_b32_e32 v45, v165
	.loc	1 69 26                         ; attention_bwd.py:69:26 @[ attention_bwd.py:200:26 ]
	s_clause 0x4                            ; 20-byte Folded Reload
	scratch_load_b32 v10, off, off offset:1092 th:TH_LOAD_LU
	scratch_load_b32 v11, off, off offset:1076 th:TH_LOAD_LU
	;; [unrolled: 1-line block ×5, first 2 shown]
	s_wait_loadcnt 0x9
	v_wmma_f32_16x16x16_f16 v[81:88], v[132:135], v[16:19], v[81:88]
	.loc	1 58 21                         ; attention_bwd.py:58:21 @[ attention_bwd.py:200:26 ]
	ds_load_u16 v30, v168 offset:4960
	ds_load_u16 v204, v168 offset:4352
	;; [unrolled: 1-line block ×10, first 2 shown]
	s_wait_dscnt 0x9
	ds_load_u16_d16_hi v30, v168 offset:5088
	ds_load_u16 v29, v168 offset:4704
	ds_load_u16_d16_hi v203, v168 offset:4224
	s_wait_dscnt 0xa
	ds_load_u16_d16_hi v206, v168 offset:4992
	s_wait_dscnt 0x9
	ds_load_u16_d16_hi v16, v168 offset:6336
	ds_load_u16 v28, v168 offset:4448
	s_wait_dscnt 0x4
	ds_load_u16_d16_hi v29, v168 offset:4832
	ds_load_u16_d16_hi v204, v168 offset:4480
	;; [unrolled: 1-line block ×3, first 2 shown]
	s_wait_dscnt 0x3
	ds_load_u16_d16_hi v28, v168 offset:4576
	ds_load_u16_d16_hi v38, v168 offset:4768
	;; [unrolled: 1-line block ×5, first 2 shown]
	ds_load_u16 v20, v168 offset:6176
	ds_load_u16 v24, v168 offset:6240
	.loc	1 69 26                         ; attention_bwd.py:69:26 @[ attention_bwd.py:200:26 ]
	s_clause 0x1                            ; 8-byte Folded Reload
	scratch_load_b32 v17, off, off offset:1028 th:TH_LOAD_LU
	scratch_load_b32 v18, off, off offset:1012 th:TH_LOAD_LU
	.loc	1 53 26                         ; attention_bwd.py:53:26 @[ attention_bwd.py:200:26 ]
	v_exp_f32_e32 v19, v52
	.loc	1 69 26                         ; attention_bwd.py:69:26 @[ attention_bwd.py:200:26 ]
	s_clause 0x3                            ; 16-byte Folded Reload
	scratch_load_b32 v52, off, off offset:996 th:TH_LOAD_LU
	scratch_load_b32 v134, off, off offset:684 th:TH_LOAD_LU
	;; [unrolled: 1-line block ×4, first 2 shown]
	.loc	1 62 26                         ; attention_bwd.py:62:26 @[ attention_bwd.py:200:26 ]
	s_wait_loadcnt_dscnt 0xb07
	v_wmma_f32_16x16x16_f16 v[217:224], v[203:206], v[0:3], v[217:224]
	s_wait_dscnt 0x6
	v_wmma_f32_16x16x16_f16 v[96:103], v[27:30], v[0:3], v[96:103]
	v_wmma_f32_16x16x16_f16 v[120:127], v[203:206], v[4:7], v[120:127]
	;; [unrolled: 1-line block ×3, first 2 shown]
	s_wait_dscnt 0x3
	v_wmma_f32_16x16x16_f16 v[104:111], v[36:39], v[0:3], v[104:111]
	v_wmma_f32_16x16x16_f16 v[209:216], v[36:39], v[4:7], v[209:216]
	s_clause 0x5                            ; 48-byte Folded Reload
	scratch_load_b32 v39, off, off offset:660 th:TH_LOAD_LU
	scratch_load_b32 v38, off, off offset:652 th:TH_LOAD_LU
	scratch_load_b32 v37, off, off offset:644 th:TH_LOAD_LU
	scratch_load_b32 v36, off, off offset:636 th:TH_LOAD_LU
	scratch_load_b128 v[146:149], off, off offset:448 th:TH_LOAD_LU
	scratch_load_b128 v[150:153], off, off offset:464 th:TH_LOAD_LU
	s_wait_dscnt 0x2
	v_wmma_f32_16x16x16_f16 v[112:119], v[40:43], v[0:3], v[112:119]
	.loc	1 68 21                         ; attention_bwd.py:68:21 @[ attention_bwd.py:200:26 ]
	s_clause 0x7                            ; 32-byte Folded Reload
	scratch_load_b32 v1, off, off offset:1100 th:TH_LOAD_LU
	scratch_load_b32 v2, off, off offset:1108 th:TH_LOAD_LU
	;; [unrolled: 1-line block ×8, first 2 shown]
	.loc	1 62 26                         ; attention_bwd.py:62:26 @[ attention_bwd.py:200:26 ]
	s_wait_loadcnt 0x8
	v_wmma_f32_16x16x16_f16 v[146:153], v[40:43], v[4:7], v[146:153]
	.loc	1 53 26                         ; attention_bwd.py:53:26 @[ attention_bwd.py:200:26 ]
	v_exp_f32_e32 v7, v49
	v_exp_f32_e32 v6, v208
	;; [unrolled: 1-line block ×4, first 2 shown]
	s_clause 0x2                            ; 12-byte Folded Reload
	scratch_load_b32 v143, off, off offset:704 th:TH_LOAD_LU
	scratch_load_b32 v141, off, off offset:696 th:TH_LOAD_LU
	;; [unrolled: 1-line block ×3, first 2 shown]
	v_dual_mov_b32 v41, v169 :: v_dual_mov_b32 v42, v170
	v_mov_b32_e32 v43, v171
	.loc	1 68 21                         ; attention_bwd.py:68:21 @[ attention_bwd.py:200:26 ]
	s_wait_loadcnt 0x8
	v_fma_mixlo_f16 v3, v7, v3, 0
	v_fma_mixlo_f16 v2, v6, v2, 0
	;; [unrolled: 1-line block ×3, first 2 shown]
	s_wait_loadcnt 0x7
	v_fma_mixlo_f16 v0, v4, v0, 0
	v_mov_b32_e32 v44, v172
	.loc	1 69 26                         ; attention_bwd.py:69:26 @[ attention_bwd.py:200:26 ]
	v_fma_mixhi_f16 v3, v9, v10, 0
	.loc	1 53 26                         ; attention_bwd.py:53:26 @[ attention_bwd.py:200:26 ]
	v_exp_f32_e32 v10, v48
	v_mov_b32_e32 v48, v80
	s_delay_alu instid0(TRANS32_DEP_1) | instskip(SKIP_1) | instid1(TRANS32_DEP_1)
	.loc	1 69 26                         ; attention_bwd.py:69:26 @[ attention_bwd.py:200:26 ]
	v_fma_mixhi_f16 v2, v10, v11, 0
	.loc	1 53 26                         ; attention_bwd.py:53:26 @[ attention_bwd.py:200:26 ]
	v_exp_f32_e32 v11, v207
	.loc	1 69 26                         ; attention_bwd.py:69:26 @[ attention_bwd.py:200:26 ]
	v_fma_mixhi_f16 v1, v11, v17, 0
	.loc	1 53 26                         ; attention_bwd.py:53:26 @[ attention_bwd.py:200:26 ]
	v_exp_f32_e32 v17, v201
	s_delay_alu instid0(TRANS32_DEP_1) | instskip(SKIP_1) | instid1(VALU_DEP_1)
	.loc	1 69 26                         ; attention_bwd.py:69:26 @[ attention_bwd.py:200:26 ]
	v_fma_mixhi_f16 v0, v17, v18, 0
	.loc	1 53 26                         ; attention_bwd.py:53:26 @[ attention_bwd.py:200:26 ]
	v_exp_f32_e32 v18, v35
	.loc	1 69 26                         ; attention_bwd.py:69:26 @[ attention_bwd.py:200:26 ]
	v_wmma_f32_16x16x16_f16 v[192:199], v[12:15], v[0:3], v[192:199]
	v_wmma_f32_16x16x16_f16 v[56:63], v[31:34], v[0:3], v[56:63]
	;; [unrolled: 1-line block ×4, first 2 shown]
	.loc	1 68 21                         ; attention_bwd.py:68:21 @[ attention_bwd.py:200:26 ]
	s_clause 0x3                            ; 16-byte Folded Reload
	scratch_load_b32 v0, off, off offset:1036 th:TH_LOAD_LU
	scratch_load_b32 v1, off, off offset:1052 th:TH_LOAD_LU
	;; [unrolled: 1-line block ×4, first 2 shown]
	s_clause 0x1                            ; 32-byte Folded Spill
	scratch_store_b128 off, v[56:59], off offset:512
	scratch_store_b128 off, v[60:63], off offset:528
	v_mov_b32_e32 v57, v247
	s_clause 0x5                            ; 96-byte Folded Spill
	scratch_store_b128 off, v[192:195], off offset:480
	scratch_store_b128 off, v[196:199], off offset:496
	;; [unrolled: 1-line block ×6, first 2 shown]
	v_dual_mov_b32 v56, v173 :: v_dual_mov_b32 v59, v249
	v_mov_b32_e32 v58, v248
	s_wait_loadcnt 0x3
	v_fma_mixlo_f16 v0, v18, v0, 0
	s_wait_loadcnt 0x2
	v_fma_mixlo_f16 v1, v19, v1, 0
	;; [unrolled: 2-line block ×4, first 2 shown]
	s_delay_alu instid0(VALU_DEP_1) | instskip(SKIP_1) | instid1(TRANS32_DEP_1)
	.loc	1 69 26                         ; attention_bwd.py:69:26 @[ attention_bwd.py:200:26 ]
	v_fma_mixhi_f16 v3, v23, v25, 0
	.loc	1 53 26                         ; attention_bwd.py:53:26 @[ attention_bwd.py:200:26 ]
	v_exp_f32_e32 v25, v55
	.loc	1 69 26                         ; attention_bwd.py:69:26 @[ attention_bwd.py:200:26 ]
	v_fma_mixhi_f16 v2, v25, v26, 0
	.loc	1 53 26                         ; attention_bwd.py:53:26 @[ attention_bwd.py:200:26 ]
	v_exp_f32_e32 v26, v53
	s_delay_alu instid0(TRANS32_DEP_1) | instskip(SKIP_1) | instid1(TRANS32_DEP_1)
	.loc	1 69 26                         ; attention_bwd.py:69:26 @[ attention_bwd.py:200:26 ]
	v_fma_mixhi_f16 v1, v26, v27, 0
	.loc	1 53 26                         ; attention_bwd.py:53:26 @[ attention_bwd.py:200:26 ]
	v_exp_f32_e32 v27, v51
	.loc	1 69 26                         ; attention_bwd.py:69:26 @[ attention_bwd.py:200:26 ]
	v_fma_mixhi_f16 v0, v27, v52, 0
	s_delay_alu instid0(VALU_DEP_1)
	v_wmma_f32_16x16x16_f16 v[226:233], v[12:15], v[0:3], v[226:233]
	v_wmma_f32_16x16x16_f16 v[176:183], v[31:34], v[0:3], v[176:183]
	;; [unrolled: 1-line block ×4, first 2 shown]
	.loc	1 61 21                         ; attention_bwd.py:61:21 @[ attention_bwd.py:200:26 ]
	v_cvt_f16_f32_e32 v0, v6
	v_cvt_f16_f32_e32 v1, v7
	;; [unrolled: 1-line block ×5, first 2 shown]
	s_clause 0x1                            ; 8-byte Folded Reload
	scratch_load_b32 v139, off, off offset:688 th:TH_LOAD_LU
	scratch_load_b32 v35, off, off offset:628 th:TH_LOAD_LU
	.loc	1 62 26                         ; attention_bwd.py:62:26 @[ attention_bwd.py:200:26 ]
	v_pack_b32_f16 v3, v1, v2
	v_pack_b32_f16 v2, v0, v6
	.loc	1 61 21                         ; attention_bwd.py:61:21 @[ attention_bwd.py:200:26 ]
	v_cvt_f16_f32_e32 v0, v5
	v_cvt_f16_f32_e32 v1, v11
	;; [unrolled: 1-line block ×4, first 2 shown]
	s_clause 0x3                            ; 16-byte Folded Reload
	scratch_load_b32 v34, off, off offset:620 th:TH_LOAD_LU
	scratch_load_b32 v33, off, off offset:612 th:TH_LOAD_LU
	;; [unrolled: 1-line block ×4, first 2 shown]
	s_clause 0x1                            ; 32-byte Folded Spill
	scratch_store_b128 off, v[226:229], off offset:224
	scratch_store_b128 off, v[230:233], off offset:240
	.loc	1 62 26                         ; attention_bwd.py:62:26 @[ attention_bwd.py:200:26 ]
	v_pack_b32_f16 v1, v0, v1
	.loc	1 61 21                         ; attention_bwd.py:61:21 @[ attention_bwd.py:200:26 ]
	v_cvt_f16_f32_e32 v0, v4
	v_cvt_f16_f32_e32 v4, v17
	.loc	1 62 26                         ; attention_bwd.py:62:26 @[ attention_bwd.py:200:26 ]
	v_pack_b32_f16 v7, v5, v6
	.loc	1 61 21                         ; attention_bwd.py:61:21 @[ attention_bwd.py:200:26 ]
	v_cvt_f16_f32_e32 v5, v26
	s_clause 0x3                            ; 64-byte Folded Spill
	scratch_store_b128 off, v[176:179], off offset:320
	scratch_store_b128 off, v[180:183], off offset:336
	;; [unrolled: 1-line block ×4, first 2 shown]
	.loc	1 62 26                         ; attention_bwd.py:62:26 @[ attention_bwd.py:200:26 ]
	v_pack_b32_f16 v0, v0, v4
	.loc	1 61 21                         ; attention_bwd.py:61:21 @[ attention_bwd.py:200:26 ]
	v_cvt_f16_f32_e32 v4, v21
	s_clause 0x1                            ; 32-byte Folded Spill
	scratch_store_b128 off, v[81:84], off offset:160
	scratch_store_b128 off, v[85:88], off offset:176
	v_mov_b32_e32 v66, v166
	.loc	1 62 26                         ; attention_bwd.py:62:26 @[ attention_bwd.py:200:26 ]
	v_pack_b32_f16 v6, v4, v9
	.loc	1 61 21                         ; attention_bwd.py:61:21 @[ attention_bwd.py:200:26 ]
	v_cvt_f16_f32_e32 v4, v19
	v_cvt_f16_f32_e32 v9, v27
	s_delay_alu instid0(VALU_DEP_2) | instskip(SKIP_1) | instid1(VALU_DEP_1)
	.loc	1 62 26                         ; attention_bwd.py:62:26 @[ attention_bwd.py:200:26 ]
	v_pack_b32_f16 v5, v4, v5
	.loc	1 61 21                         ; attention_bwd.py:61:21 @[ attention_bwd.py:200:26 ]
	v_cvt_f16_f32_e32 v4, v18
	.loc	1 62 26                         ; attention_bwd.py:62:26 @[ attention_bwd.py:200:26 ]
	v_pack_b32_f16 v4, v4, v9
	.loc	1 58 21                         ; attention_bwd.py:58:21 @[ attention_bwd.py:200:26 ]
	ds_load_u16 v9, v168 offset:6400
	ds_load_u16 v21, v168 offset:6432
	;; [unrolled: 1-line block ×6, first 2 shown]
	ds_load_u16_d16_hi v8, v168 offset:6272
	s_wait_dscnt 0x6
	ds_load_u16_d16_hi v9, v168 offset:6528
	s_wait_dscnt 0x6
	ds_load_u16_d16_hi v21, v168 offset:6560
	s_wait_dscnt 0x6
	ds_load_u16_d16_hi v10, v168 offset:6784
	s_wait_dscnt 0x6
	ds_load_u16_d16_hi v18, v168 offset:6848
	s_wait_dscnt 0x6
	ds_load_u16_d16_hi v11, v168 offset:7040
	s_wait_dscnt 0x6
	ds_load_u16_d16_hi v19, v168 offset:7104
	ds_load_u16 v27, v168 offset:7008
	ds_load_u16 v26, v168 offset:6752
	;; [unrolled: 1-line block ×6, first 2 shown]
	s_wait_dscnt 0x3
	ds_load_u16_d16_hi v25, v168 offset:6624
	ds_load_u16_d16_hi v26, v168 offset:6880
	s_wait_dscnt 0x4
	ds_load_u16_d16_hi v22, v168 offset:6816
	ds_load_u16_d16_hi v27, v168 offset:7136
	;; [unrolled: 3-line block ×3, first 2 shown]
	ds_load_u16_d16_hi v24, v168 offset:6368
	s_wait_dscnt 0x7
	ds_load_u16_d16_hi v17, v168 offset:6592
	.loc	1 62 26                         ; attention_bwd.py:62:26 @[ attention_bwd.py:200:26 ]
	v_wmma_f32_16x16x16_f16 v[217:224], v[8:11], v[0:3], v[217:224]
	v_wmma_f32_16x16x16_f16 v[120:127], v[8:11], v[4:7], v[120:127]
	s_clause 0x3                            ; 64-byte Folded Spill
	scratch_store_b128 off, v[217:220], off offset:544
	scratch_store_b128 off, v[221:224], off offset:560
	;; [unrolled: 1-line block ×4, first 2 shown]
	s_wait_dscnt 0x2
	v_wmma_f32_16x16x16_f16 v[104:111], v[20:23], v[0:3], v[104:111]
	v_wmma_f32_16x16x16_f16 v[209:216], v[20:23], v[4:7], v[209:216]
	s_clause 0x3                            ; 16-byte Folded Reload
	scratch_load_b32 v23, off, off offset:588 th:TH_LOAD_LU
	scratch_load_b32 v22, off, off offset:584 th:TH_LOAD_LU
	scratch_load_b32 v21, off, off offset:580 th:TH_LOAD_LU
	scratch_load_b32 v20, off, off offset:576 th:TH_LOAD_LU
	s_wait_dscnt 0x0
	v_wmma_f32_16x16x16_f16 v[112:119], v[16:19], v[0:3], v[112:119]
	v_wmma_f32_16x16x16_f16 v[96:103], v[24:27], v[0:3], v[96:103]
	.loc	1 73 19                         ; attention_bwd.py:73:19 @[ attention_bwd.py:200:26 ]
	v_add_co_u32 v0, vcc_lo, v200, s8
	s_wait_alu depctr_va_vcc(0)
	v_add_co_ci_u32_e64 v1, null, s9, v225, vcc_lo
	.loc	1 62 26                         ; attention_bwd.py:62:26 @[ attention_bwd.py:200:26 ]
	v_wmma_f32_16x16x16_f16 v[146:153], v[16:19], v[4:7], v[146:153]
	v_wmma_f32_16x16x16_f16 v[235:242], v[24:27], v[4:7], v[235:242]
	s_clause 0x1                            ; 32-byte Folded Spill
	scratch_store_b128 off, v[104:107], off offset:64
	scratch_store_b128 off, v[108:111], off offset:80
	.loc	1 58 21                         ; attention_bwd.py:58:21 @[ attention_bwd.py:200:26 ]
	global_load_u16 v4, v[0:1], off
	.loc	1 73 19                         ; attention_bwd.py:73:19 @[ attention_bwd.py:200:26 ]
	v_add_co_u32 v0, vcc_lo, v174, s8
	s_wait_alu depctr_va_vcc(0)
	v_add_co_ci_u32_e64 v1, null, s9, v175, vcc_lo
	s_clause 0x5                            ; 96-byte Folded Spill
	scratch_store_b128 off, v[112:115], off offset:128
	scratch_store_b128 off, v[116:119], off offset:144
	scratch_store_b128 off, v[96:99], off offset:352
	scratch_store_b128 off, v[100:103], off offset:368
	scratch_store_b128 off, v[209:212], off offset:416
	scratch_store_b128 off, v[213:216], off offset:432
	.loc	1 58 21                         ; attention_bwd.py:58:21 @[ attention_bwd.py:200:26 ]
	global_load_u16 v5, v[0:1], off
	.loc	1 73 19                         ; attention_bwd.py:73:19 @[ attention_bwd.py:200:26 ]
	v_add_co_u32 v0, vcc_lo, v142, s8
	s_wait_alu depctr_va_vcc(0)
	v_add_co_ci_u32_e64 v1, null, s9, v143, vcc_lo
	s_clause 0x3                            ; 64-byte Folded Spill
	scratch_store_b128 off, v[146:149], off offset:448
	scratch_store_b128 off, v[150:153], off offset:464
	;; [unrolled: 1-line block ×4, first 2 shown]
	.loc	1 58 21                         ; attention_bwd.py:58:21 @[ attention_bwd.py:200:26 ]
	global_load_u16 v6, v[0:1], off
	.loc	1 73 19                         ; attention_bwd.py:73:19 @[ attention_bwd.py:200:26 ]
	v_add_co_u32 v0, vcc_lo, v140, s8
	s_wait_alu depctr_va_vcc(0)
	v_add_co_ci_u32_e64 v1, null, s9, v141, vcc_lo
	.loc	1 58 21                         ; attention_bwd.py:58:21 @[ attention_bwd.py:200:26 ]
	global_load_u16 v7, v[0:1], off
	.loc	1 73 19                         ; attention_bwd.py:73:19 @[ attention_bwd.py:200:26 ]
	v_add_co_u32 v0, vcc_lo, v134, s8
	s_wait_loadcnt 0xd
	s_wait_alu depctr_va_vcc(0)
	v_add_co_ci_u32_e64 v1, null, s9, v139, vcc_lo
	.loc	1 58 21                         ; attention_bwd.py:58:21 @[ attention_bwd.py:200:26 ]
	global_load_u16 v8, v[0:1], off
	.loc	1 73 19                         ; attention_bwd.py:73:19 @[ attention_bwd.py:200:26 ]
	v_add_co_u32 v0, vcc_lo, v132, s8
	s_wait_alu depctr_va_vcc(0)
	v_add_co_ci_u32_e64 v1, null, s9, v133, vcc_lo
	.loc	1 58 21                         ; attention_bwd.py:58:21 @[ attention_bwd.py:200:26 ]
	global_load_u16 v9, v[0:1], off
	.loc	1 73 19                         ; attention_bwd.py:73:19 @[ attention_bwd.py:200:26 ]
	v_add_co_u32 v0, vcc_lo, v46, s8
	;; [unrolled: 6-line block ×5, first 2 shown]
	s_wait_alu depctr_va_vcc(0)
	v_add_co_ci_u32_e64 v1, null, s9, v37, vcc_lo
	.loc	1 58 21                         ; attention_bwd.py:58:21 @[ attention_bwd.py:200:26 ]
	global_load_u16 v13, v[0:1], off
	.loc	1 73 19                         ; attention_bwd.py:73:19 @[ attention_bwd.py:200:26 ]
	s_wait_loadcnt 0x11
	v_add_co_u32 v0, vcc_lo, v34, s8
	s_wait_alu depctr_va_vcc(0)
	v_add_co_ci_u32_e64 v1, null, s9, v35, vcc_lo
	.loc	1 58 21                         ; attention_bwd.py:58:21 @[ attention_bwd.py:200:26 ]
	global_load_u16 v14, v[0:1], off
	.loc	1 73 19                         ; attention_bwd.py:73:19 @[ attention_bwd.py:200:26 ]
	s_wait_loadcnt 0x10
	v_add_co_u32 v0, vcc_lo, v32, s8
	s_wait_alu depctr_va_vcc(0)
	v_add_co_ci_u32_e64 v1, null, s9, v33, vcc_lo
	.loc	1 58 21                         ; attention_bwd.py:58:21 @[ attention_bwd.py:200:26 ]
	global_load_u16 v15, v[0:1], off
	.loc	1 73 19                         ; attention_bwd.py:73:19 @[ attention_bwd.py:200:26 ]
	v_add_co_u32 v0, vcc_lo, v30, s8
	s_wait_loadcnt 0x10
	s_wait_alu depctr_va_vcc(0)
	v_add_co_ci_u32_e64 v1, null, s9, v31, vcc_lo
	.loc	1 58 21                         ; attention_bwd.py:58:21 @[ attention_bwd.py:200:26 ]
	global_load_u16 v16, v[0:1], off
	.loc	1 73 19                         ; attention_bwd.py:73:19 @[ attention_bwd.py:200:26 ]
	v_add_co_u32 v0, vcc_lo, v28, s8
	s_wait_alu depctr_va_vcc(0)
	v_add_co_ci_u32_e64 v1, null, s9, v29, vcc_lo
	.loc	1 58 21                         ; attention_bwd.py:58:21 @[ attention_bwd.py:200:26 ]
	global_load_u16 v17, v[0:1], off
	.loc	1 73 19                         ; attention_bwd.py:73:19 @[ attention_bwd.py:200:26 ]
	s_wait_loadcnt 0x10
	v_add_co_u32 v0, vcc_lo, v22, s8
	s_wait_alu depctr_va_vcc(0)
	v_add_co_ci_u32_e64 v1, null, s9, v23, vcc_lo
	.loc	1 58 21                         ; attention_bwd.py:58:21 @[ attention_bwd.py:200:26 ]
	global_load_u16 v18, v[0:1], off
	.loc	1 48 21                         ; attention_bwd.py:48:21 @[ attention_bwd.py:200:26 ]
	s_wait_loadcnt 0xf
	v_add_co_u32 v0, vcc_lo, v20, s8
	s_wait_alu depctr_va_vcc(0)
	v_add_co_ci_u32_e64 v1, null, s9, v21, vcc_lo
	.loc	1 58 21                         ; attention_bwd.py:58:21 @[ attention_bwd.py:200:26 ]
	global_load_u16 v19, v[0:1], off
	.loc	1 51 24                         ; attention_bwd.py:51:24 @[ attention_bwd.py:200:26 ]
	v_add_co_u32 v0, vcc_lo, v155, s44
	s_wait_alu depctr_va_vcc(0)
	v_add_co_ci_u32_e64 v1, null, s45, v48, vcc_lo
	.loc	1 64 25                         ; attention_bwd.py:64:25 @[ attention_bwd.py:200:26 ]
	v_add_co_u32 v2, vcc_lo, v164, s44
	s_wait_alu depctr_va_vcc(0)
	v_add_co_ci_u32_e64 v3, null, s45, v90, vcc_lo
	.loc	1 51 20                         ; attention_bwd.py:51:20 @[ attention_bwd.py:200:26 ]
	s_clause 0x3
	global_load_b128 v[205:208], v[0:1], off offset:128
	global_load_b128 v[169:172], v[0:1], off offset:144
	global_load_b128 v[24:27], v[0:1], off offset:192
	global_load_b128 v[184:187], v[0:1], off offset:208
	s_clause 0x1                            ; 8-byte Folded Reload
	scratch_load_b32 v1, off, off offset:32 th:TH_LOAD_LU
	scratch_load_b32 v0, off, off th:TH_LOAD_LU
	.loc	1 64 21                         ; attention_bwd.py:64:21 @[ attention_bwd.py:200:26 ]
	s_clause 0x3
	global_load_b128 v[135:138], v[2:3], off offset:128
	global_load_b128 v[52:55], v[2:3], off offset:144
	;; [unrolled: 1-line block ×4, first 2 shown]
	s_clause 0x1                            ; 8-byte Folded Reload
	scratch_load_b32 v3, off, off offset:712 th:TH_LOAD_LU
	scratch_load_b32 v2, off, off offset:708 th:TH_LOAD_LU
	.loc	1 47 25                         ; attention_bwd.py:47:25 @[ attention_bwd.py:200:26 ]
	v_add_co_u32 v155, vcc_lo, 0x80, v155
	s_wait_alu depctr_va_vcc(0)
	v_add_co_ci_u32_e64 v48, null, 0, v48, vcc_lo
	v_add_co_u32 v164, vcc_lo, 0x80, v164
	s_wait_alu depctr_va_vcc(0)
	v_add_co_ci_u32_e64 v90, null, 0, v90, vcc_lo
	;; [unrolled: 3-line block ×21, first 2 shown]
	.loc	1 48 21                         ; attention_bwd.py:48:21 @[ attention_bwd.py:200:26 ]
	s_wait_loadcnt 0x0
	s_wait_storecnt 0x0
	s_barrier_signal -1
	s_barrier_wait -1
	global_inv scope:SCOPE_SE
	scratch_load_b32 v67, off, off offset:820 th:TH_LOAD_LU ; 4-byte Folded Reload
	.loc	1 58 21                         ; attention_bwd.py:58:21 @[ attention_bwd.py:200:26 ]
	ds_store_b16 v234, v5 offset:4352
	ds_store_b16 v234, v6 offset:4608
	;; [unrolled: 1-line block ×6, first 2 shown]
	s_clause 0x5                            ; 24-byte Folded Reload
	scratch_load_b32 v5, off, off offset:720 th:TH_LOAD_LU
	scratch_load_b32 v6, off, off offset:724 th:TH_LOAD_LU
	;; [unrolled: 1-line block ×6, first 2 shown]
	.loc	1 48 21                         ; attention_bwd.py:48:21 @[ attention_bwd.py:200:26 ]
	s_wait_loadcnt 0x6
	ds_store_b16 v234, v67
	scratch_load_b32 v67, off, off offset:836 th:TH_LOAD_LU ; 4-byte Folded Reload
	s_wait_loadcnt 0x0
	ds_store_b16 v234, v67 offset:256
	scratch_load_b32 v67, off, off offset:852 th:TH_LOAD_LU ; 4-byte Folded Reload
	s_wait_loadcnt 0x0
	ds_store_b16 v234, v67 offset:512
	;; [unrolled: 3-line block ×15, first 2 shown]
	.loc	1 58 21                         ; attention_bwd.py:58:21 @[ attention_bwd.py:200:26 ]
	ds_store_b16 v234, v4 offset:4096
	ds_store_b16 v234, v7 offset:4864
	;; [unrolled: 1-line block ×10, first 2 shown]
	s_clause 0x1                            ; 8-byte Folded Reload
	scratch_load_b32 v15, off, off offset:804 th:TH_LOAD_LU
	scratch_load_b32 v4, off, off offset:716 th:TH_LOAD_LU
	.loc	1 47 25                         ; attention_bwd.py:47:25 @[ attention_bwd.py:200:26 ]
	s_wait_loadcnt 0x1
	v_add_co_u32 v15, vcc_lo, v15, s18
	s_wait_alu depctr_va_vcc(0)
	v_add_co_ci_u32_e64 v16, null, s19, v16, vcc_lo
	v_add_co_u32 v157, vcc_lo, v157, s18
	s_wait_alu depctr_va_vcc(0)
	v_add_co_ci_u32_e64 v56, null, s19, v56, vcc_lo
	;; [unrolled: 3-line block ×6, first 2 shown]
	s_wait_loadcnt 0x0
	v_add_co_u32 v4, vcc_lo, v4, s18
	s_wait_alu depctr_va_vcc(0)
	v_add_co_ci_u32_e64 v5, null, s19, v5, vcc_lo
	v_add_co_u32 v6, vcc_lo, v6, s18
	s_wait_alu depctr_va_vcc(0)
	v_add_co_ci_u32_e64 v89, null, s19, v89, vcc_lo
	;; [unrolled: 3-line block ×7, first 2 shown]
	s_cbranch_scc1 .LBB0_68
; %bb.69:                               ; %Flow1120
	.loc	1 0 25 is_stmt 0                ; attention_bwd.py:0:25
	s_clause 0x1a                           ; 372-byte Folded Reload
	scratch_load_b128 v[239:242], off, off offset:480
	scratch_load_b128 v[243:246], off, off offset:496
	;; [unrolled: 1-line block ×4, first 2 shown]
	scratch_load_b32 v222, off, off offset:1424
	scratch_load_b32 v247, off, off offset:1348
	scratch_load_b128 v[235:238], off, off offset:1268
	scratch_load_b128 v[164:167], off, off offset:1284
	;; [unrolled: 1-line block ×18, first 2 shown]
	scratch_load_b32 v32, off, off offset:1428
	scratch_load_b32 v33, off, off offset:1352
	;; [unrolled: 1-line block ×3, first 2 shown]
	v_dual_mov_b32 v204, v187 :: v_dual_mov_b32 v203, v186
	s_mov_b32 s18, s98
	v_dual_mov_b32 v202, v185 :: v_dual_mov_b32 v201, v184
	s_branch .LBB0_71
.LBB0_70:
	v_dual_mov_b32 v104, v21 :: v_dual_mov_b32 v13, v21
	v_dual_mov_b32 v12, v21 :: v_dual_mov_b32 v11, v21
	;; [unrolled: 1-line block ×5, first 2 shown]
	s_clause 0x3                            ; 64-byte Folded Spill
	scratch_store_b128 off, v[6:9], off offset:128
	scratch_store_b128 off, v[10:13], off offset:144
	;; [unrolled: 1-line block ×4, first 2 shown]
	v_dual_mov_b32 v24, v128 :: v_dual_mov_b32 v27, v131
	v_dual_mov_b32 v20, v21 :: v_dual_mov_b32 v19, v21
	;; [unrolled: 1-line block ×24, first 2 shown]
	v_mov_b32_e32 v26, v130
	s_clause 0xb                            ; 192-byte Folded Spill
	scratch_store_b128 off, v[6:9], off offset:160
	scratch_store_b128 off, v[10:13], off offset:176
	;; [unrolled: 1-line block ×12, first 2 shown]
	v_mov_b32_e32 v88, v21
	s_clause 0x1                            ; 32-byte Folded Spill
	scratch_store_b128 off, v[14:17], off offset:96
	scratch_store_b128 off, v[18:21], off offset:112
	v_mov_b32_e32 v33, v3
	v_dual_mov_b32 v199, v13 :: v_dual_mov_b32 v246, v13
	v_dual_mov_b32 v243, v10 :: v_dual_mov_b32 v198, v12
	;; [unrolled: 1-line block ×8, first 2 shown]
.LBB0_71:                               ; %Flow1122
	v_readlane_b32 s0, v250, 9
	v_readlane_b32 s1, v250, 10
	scratch_store_b128 off, v[148:151], off offset:448 ; 16-byte Folded Spill
	.loc	1 69 26 is_stmt 1               ; attention_bwd.py:69:26 @[ attention_bwd.py:200:26 ]
	s_wait_storecnt 0x0
	s_wait_loadcnt_dscnt 0x0
	s_barrier_signal -1
	.loc	1 48 21                         ; attention_bwd.py:48:21 @[ attention_bwd.py:200:26 ]
	v_or_b32_e32 v0, v5, v32
	s_clause 0x2
	s_load_b32 s4, s[0:1], 0x18
	s_load_b128 s[12:15], s[0:1], 0x28
	s_load_b64 s[0:1], s[0:1], 0x38
	v_dual_mov_b32 v46, v135 :: v_dual_mov_b32 v47, v136
	v_dual_mov_b32 v191, v111 :: v_dual_mov_b32 v190, v110
	;; [unrolled: 1-line block ×7, first 2 shown]
	v_dual_mov_b32 v136, 0 :: v_dual_add_nc_u32 v225, 0, v0
	v_dual_mov_b32 v138, 0 :: v_dual_mov_b32 v139, 0
	v_dual_mov_b32 v140, 0 :: v_dual_mov_b32 v141, 0
	;; [unrolled: 1-line block ×15, first 2 shown]
	.loc	1 52 24                         ; attention_bwd.py:52:24 @[ attention_bwd.py:200:26 ]
	s_and_b32 vcc_lo, exec_lo, s33
	.loc	1 69 26                         ; attention_bwd.py:69:26 @[ attention_bwd.py:200:26 ]
	s_barrier_wait -1
	global_inv scope:SCOPE_SE
	s_wait_alu depctr_sa_sdst(0)
	s_cbranch_vccnz .LBB0_73
; %bb.72:
	.loc	1 48 21                         ; attention_bwd.py:48:21 @[ attention_bwd.py:200:26 ]
	ds_load_u16 v3, v225 offset:416
	ds_load_u16 v4, v225 offset:1024
	;; [unrolled: 1-line block ×5, first 2 shown]
	s_wait_dscnt 0x4
	ds_load_u16_d16_hi v3, v225 offset:480
	s_wait_dscnt 0x4
	ds_load_u16_d16_hi v4, v225 offset:1088
	ds_load_u16 v10, v225 offset:256
	ds_load_u16 v9, v225 offset:128
	;; [unrolled: 1-line block ×3, first 2 shown]
	ds_load_u16 v8, v225
	ds_load_u16 v6, v225 offset:1280
	ds_load_u16 v12, v225 offset:2048
	;; [unrolled: 1-line block ×8, first 2 shown]
	s_wait_dscnt 0x10
	ds_load_u16_d16_hi v5, v225 offset:1216
	s_wait_dscnt 0xf
	ds_load_u16_d16_hi v11, v225 offset:448
	;; [unrolled: 2-line block ×6, first 2 shown]
	ds_load_u16 v13, v225 offset:2176
	s_wait_dscnt 0xe
	ds_load_u16_d16_hi v6, v225 offset:1344
	ds_load_u16 v18, v225 offset:2080
	s_wait_dscnt 0xf
	ds_load_u16_d16_hi v12, v225 offset:2112
	s_wait_dscnt 0xf
	ds_load_u16_d16_hi v7, v225 offset:1472
	ds_load_u16_d16_hi v2, v225 offset:352
	s_wait_dscnt 0x10
	ds_load_u16_d16_hi v1, v225 offset:224
	s_wait_dscnt 0x10
	;; [unrolled: 2-line block ×5, first 2 shown]
	ds_load_u16_d16_hi v16, v225 offset:1376
	.loc	1 52 24                         ; attention_bwd.py:52:24 @[ attention_bwd.py:200:26 ]
	s_wait_dscnt 0xb
	v_wmma_f32_16x16x16_f16 v[136:143], v[8:11], v[235:238], 0
	v_wmma_f32_16x16x16_f16 v[144:151], v[8:11], v[164:167], 0
	s_wait_dscnt 0x6
	s_delay_alu instid0(VALU_DEP_2) | instskip(NEXT) | instid1(VALU_DEP_2)
	v_wmma_f32_16x16x16_f16 v[136:143], v[4:7], v[218:221], v[136:143]
	v_wmma_f32_16x16x16_f16 v[144:151], v[4:7], v[83:86], v[144:151]
	s_wait_dscnt 0x4
	v_wmma_f32_16x16x16_f16 v[128:135], v[0:3], v[235:238], 0
	v_wmma_f32_16x16x16_f16 v[152:159], v[0:3], v[164:167], 0
	s_wait_dscnt 0x0
	s_delay_alu instid0(VALU_DEP_2) | instskip(NEXT) | instid1(VALU_DEP_2)
	v_wmma_f32_16x16x16_f16 v[128:135], v[14:17], v[218:221], v[128:135]
	v_wmma_f32_16x16x16_f16 v[152:159], v[14:17], v[83:86], v[152:159]
	.loc	1 48 21                         ; attention_bwd.py:48:21 @[ attention_bwd.py:200:26 ]
	ds_load_u16 v3, v225 offset:3488
	ds_load_u16 v15, v225 offset:2432
	;; [unrolled: 1-line block ×11, first 2 shown]
	s_wait_dscnt 0xa
	ds_load_u16_d16_hi v3, v225 offset:3552
	ds_load_u16 v6, v225 offset:3328
	ds_load_u16 v1, v225 offset:3232
	s_wait_dscnt 0xc
	ds_load_u16_d16_hi v15, v225 offset:2496
	s_wait_dscnt 0xc
	ds_load_u16_d16_hi v20, v225 offset:2400
	s_wait_dscnt 0xc
	ds_load_u16_d16_hi v19, v225 offset:2272
	s_wait_dscnt 0xc
	ds_load_u16_d16_hi v14, v225 offset:2368
	ds_load_u16_d16_hi v13, v225 offset:2240
	ds_load_u16_d16_hi v18, v225 offset:2144
	s_wait_dscnt 0xd
	ds_load_u16_d16_hi v21, v225 offset:2528
	s_wait_dscnt 0xd
	;; [unrolled: 2-line block ×4, first 2 shown]
	ds_load_u16_d16_hi v0, v225 offset:3168
	ds_load_u16_d16_hi v2, v225 offset:3424
	s_wait_dscnt 0xe
	ds_load_u16_d16_hi v7, v225 offset:3520
	s_wait_dscnt 0xd
	;; [unrolled: 2-line block ×3, first 2 shown]
	ds_load_u16_d16_hi v1, v225 offset:3296
	.loc	1 52 24                         ; attention_bwd.py:52:24 @[ attention_bwd.py:200:26 ]
	s_wait_dscnt 0x9
	v_wmma_f32_16x16x16_f16 v[136:143], v[12:15], v[180:183], v[136:143]
	v_wmma_f32_16x16x16_f16 v[144:151], v[12:15], v[176:179], v[144:151]
	s_wait_dscnt 0x7
	v_wmma_f32_16x16x16_f16 v[128:135], v[18:21], v[180:183], v[128:135]
	v_wmma_f32_16x16x16_f16 v[152:159], v[18:21], v[176:179], v[152:159]
	s_wait_dscnt 0x1
	v_wmma_f32_16x16x16_f16 v[136:143], v[4:7], v[96:99], v[136:143]
	s_wait_dscnt 0x0
	v_wmma_f32_16x16x16_f16 v[128:135], v[0:3], v[96:99], v[128:135]
	v_wmma_f32_16x16x16_f16 v[144:151], v[4:7], v[100:103], v[144:151]
	;; [unrolled: 1-line block ×3, first 2 shown]
.LBB0_73:
	.loc	1 53 32                         ; attention_bwd.py:53:32 @[ attention_bwd.py:200:26 ]
	v_dual_sub_f32 v0, v136, v205 :: v_dual_sub_f32 v1, v137, v206
	s_delay_alu instid0(VALU_DEP_3) | instskip(NEXT) | instid1(VALU_DEP_4)
	v_dual_sub_f32 v8, v144, v205 :: v_dual_sub_f32 v9, v145, v206
	v_dual_sub_f32 v10, v146, v207 :: v_dual_sub_f32 v11, v147, v208
	s_delay_alu instid0(VALU_DEP_3) | instskip(NEXT) | instid1(VALU_DEP_2)
	.loc	1 53 26 is_stmt 0               ; attention_bwd.py:53:26 @[ attention_bwd.py:200:26 ]
	v_exp_f32_e32 v56, v0
	v_exp_f32_e32 v0, v8
	.loc	1 53 32                         ; attention_bwd.py:53:32 @[ attention_bwd.py:200:26 ]
	v_dual_sub_f32 v30, v158, v203 :: v_dual_sub_f32 v31, v159, v204
	v_dual_sub_f32 v12, v148, v169 :: v_dual_sub_f32 v13, v149, v170
	;; [unrolled: 1-line block ×3, first 2 shown]
	.loc	1 53 26                         ; attention_bwd.py:53:26 @[ attention_bwd.py:200:26 ]
	v_exp_f32_e32 v61, v10
	s_delay_alu instid0(VALU_DEP_2) | instskip(NEXT) | instid1(VALU_DEP_2)
	v_exp_f32_e32 v235, v12
	v_exp_f32_e32 v62, v13
	scratch_store_b32 off, v0, off offset:384 ; 4-byte Folded Spill
	v_exp_f32_e32 v0, v9
	v_exp_f32_e32 v237, v14
	;; [unrolled: 1-line block ×3, first 2 shown]
	.loc	1 53 32                         ; attention_bwd.py:53:32 @[ attention_bwd.py:200:26 ]
	v_dual_sub_f32 v2, v138, v207 :: v_dual_sub_f32 v3, v139, v208
	v_dual_sub_f32 v4, v140, v169 :: v_dual_sub_f32 v5, v141, v170
	v_dual_sub_f32 v6, v142, v171 :: v_dual_sub_f32 v7, v143, v172
	.loc	1 53 26                         ; attention_bwd.py:53:26 @[ attention_bwd.py:200:26 ]
	v_exp_f32_e32 v238, v1
	scratch_store_b32 off, v0, off offset:352 ; 4-byte Folded Spill
	v_exp_f32_e32 v0, v11
	s_clause 0x1                            ; 32-byte Folded Reload
	scratch_load_b128 v[8:11], off, off offset:128
	scratch_load_b128 v[12:15], off, off offset:144
	v_exp_f32_e32 v208, v2
	v_exp_f32_e32 v63, v3
	;; [unrolled: 1-line block ×6, first 2 shown]
	.loc	1 53 32                         ; attention_bwd.py:53:32 @[ attention_bwd.py:200:26 ]
	v_dual_sub_f32 v16, v128, v24 :: v_dual_sub_f32 v17, v129, v25
	.loc	1 53 26                         ; attention_bwd.py:53:26 @[ attention_bwd.py:200:26 ]
	scratch_store_b32 off, v0, off offset:416 ; 4-byte Folded Spill
	v_exp_f32_e32 v0, v30
	.loc	1 53 32                         ; attention_bwd.py:53:32 @[ attention_bwd.py:200:26 ]
	v_dual_sub_f32 v18, v130, v26 :: v_dual_sub_f32 v19, v131, v27
	v_dual_sub_f32 v20, v132, v201 :: v_dual_sub_f32 v21, v133, v202
	;; [unrolled: 1-line block ×3, first 2 shown]
	s_clause 0x1                            ; 32-byte Folded Reload
	scratch_load_b128 v[128:131], off, off offset:96
	scratch_load_b128 v[132:135], off, off offset:112
	v_dual_sub_f32 v24, v152, v24 :: v_dual_sub_f32 v25, v153, v25
	.loc	1 53 26                         ; attention_bwd.py:53:26 @[ attention_bwd.py:200:26 ]
	scratch_store_b32 off, v0, off offset:32 ; 4-byte Folded Spill
	v_exp_f32_e32 v0, v31
	.loc	1 53 32                         ; attention_bwd.py:53:32 @[ attention_bwd.py:200:26 ]
	v_dual_sub_f32 v26, v154, v26 :: v_dual_sub_f32 v27, v155, v27
	v_dual_sub_f32 v28, v156, v201 :: v_dual_sub_f32 v29, v157, v202
	.loc	1 53 26                         ; attention_bwd.py:53:26 @[ attention_bwd.py:200:26 ]
	v_exp_f32_e32 v223, v16
	v_exp_f32_e32 v221, v17
	;; [unrolled: 1-line block ×5, first 2 shown]
	scratch_store_b32 off, v0, off          ; 4-byte Folded Spill
	s_clause 0x1                            ; 32-byte Folded Reload
	scratch_load_b128 v[0:3], off, off offset:64
	scratch_load_b128 v[4:7], off, off offset:80
	v_exp_f32_e32 v233, v21
	v_exp_f32_e32 v166, v22
	;; [unrolled: 1-line block ×3, first 2 shown]
	v_dual_mov_b32 v16, v184 :: v_dual_mov_b32 v19, v187
	v_exp_f32_e32 v248, v24
	v_exp_f32_e32 v231, v25
	;; [unrolled: 1-line block ×6, first 2 shown]
	v_dual_mov_b32 v24, v112 :: v_dual_mov_b32 v27, v115
	v_dual_mov_b32 v18, v186 :: v_dual_mov_b32 v21, v189
	v_dual_mov_b32 v20, v188 :: v_dual_mov_b32 v23, v191
	v_dual_mov_b32 v26, v114 :: v_dual_mov_b32 v29, v117
	v_dual_mov_b32 v28, v116 :: v_dual_mov_b32 v31, v119
	v_dual_mov_b32 v183, v95 :: v_dual_add_nc_u32 v226, 0, v33
	v_dual_mov_b32 v136, v209 :: v_dual_mov_b32 v139, v212
	v_dual_mov_b32 v182, v94 :: v_dual_mov_b32 v181, v93
	;; [unrolled: 1-line block ×4, first 2 shown]
	v_mov_b32_e32 v176, v88
	v_dual_mov_b32 v144, v16 :: v_dual_mov_b32 v147, v19
	v_dual_mov_b32 v146, v18 :: v_dual_mov_b32 v149, v21
	v_dual_mov_b32 v148, v20 :: v_dual_mov_b32 v151, v23
	v_dual_mov_b32 v168, v24 :: v_dual_mov_b32 v171, v27
	v_dual_mov_b32 v170, v26 :: v_dual_mov_b32 v173, v29
	v_dual_mov_b32 v172, v28 :: v_dual_mov_b32 v175, v31
	v_dual_mov_b32 v138, v211 :: v_dual_mov_b32 v141, v214
	v_dual_mov_b32 v140, v213 :: v_dual_mov_b32 v143, v216
	v_dual_mov_b32 v142, v215 :: v_dual_mov_b32 v65, 0
	v_dual_mov_b32 v66, 0 :: v_dual_mov_b32 v67, 0
	v_dual_mov_b32 v68, 0 :: v_dual_mov_b32 v69, 0
	v_dual_mov_b32 v70, 0 :: v_dual_mov_b32 v71, 0
	v_dual_mov_b32 v200, 0 :: v_dual_mov_b32 v201, 0
	v_dual_mov_b32 v202, 0 :: v_dual_mov_b32 v203, 0
	v_dual_mov_b32 v204, 0 :: v_dual_mov_b32 v205, 0
	v_dual_mov_b32 v206, 0 :: v_dual_mov_b32 v207, 0
	v_dual_mov_b32 v80, 0 :: v_dual_mov_b32 v81, 0
	v_dual_mov_b32 v82, 0 :: v_dual_mov_b32 v83, 0
	v_dual_mov_b32 v84, 0 :: v_dual_mov_b32 v85, 0
	v_dual_mov_b32 v86, 0 :: v_dual_mov_b32 v87, 0
	v_dual_mov_b32 v72, 0 :: v_dual_mov_b32 v73, 0
	v_dual_mov_b32 v74, 0 :: v_dual_mov_b32 v75, 0
	v_dual_mov_b32 v76, 0 :: v_dual_mov_b32 v77, 0
	v_dual_mov_b32 v78, 0 :: v_dual_mov_b32 v79, 0
	.loc	1 66 24 is_stmt 1               ; attention_bwd.py:66:24 @[ attention_bwd.py:200:26 ]
	s_and_b32 vcc_lo, exec_lo, s33
	v_dual_mov_b32 v17, v185 :: v_dual_mov_b32 v22, v190
	v_dual_mov_b32 v25, v113 :: v_dual_mov_b32 v30, v118
	v_mov_b32_e32 v159, v127
	s_delay_alu instid0(VALU_DEP_3) | instskip(NEXT) | instid1(VALU_DEP_3)
	v_dual_mov_b32 v145, v17 :: v_dual_mov_b32 v150, v22
	v_dual_mov_b32 v169, v25 :: v_dual_mov_b32 v174, v30
	;; [unrolled: 1-line block ×6, first 2 shown]
	s_wait_loadcnt 0x5
	v_dual_mov_b32 v96, v8 :: v_dual_mov_b32 v99, v11
	s_wait_loadcnt 0x4
	v_mov_b32_e32 v102, v14
	v_dual_mov_b32 v98, v10 :: v_dual_mov_b32 v101, v13
	v_dual_mov_b32 v100, v12 :: v_dual_mov_b32 v103, v15
	s_wait_loadcnt 0x1
	v_dual_mov_b32 v97, v9 :: v_dual_mov_b32 v104, v0
	v_mov_b32_e32 v107, v3
	v_dual_mov_b32 v105, v1 :: v_dual_mov_b32 v106, v2
	s_wait_loadcnt 0x0
	v_dual_mov_b32 v109, v5 :: v_dual_mov_b32 v108, v4
	v_dual_mov_b32 v111, v7 :: v_dual_mov_b32 v110, v6
	s_wait_alu depctr_sa_sdst(0)
	s_cbranch_vccnz .LBB0_75
; %bb.74:
	.loc	1 62 26                         ; attention_bwd.py:62:26 @[ attention_bwd.py:200:26 ]
	s_clause 0x7                            ; 128-byte Folded Reload
	scratch_load_b128 v[33:36], off, off offset:1188 th:TH_LOAD_LU
	scratch_load_b128 v[128:131], off, off offset:1204 th:TH_LOAD_LU
	;; [unrolled: 1-line block ×4, first 2 shown]
	scratch_load_b128 v[104:107], off, off offset:64
	scratch_load_b128 v[108:111], off, off offset:80
	;; [unrolled: 1-line block ×4, first 2 shown]
	.loc	1 66 24                         ; attention_bwd.py:66:24 @[ attention_bwd.py:200:26 ]
	v_add3_u32 v0, 0, v222, v247
	ds_load_b128 v[1:4], v0 offset:6144
	ds_load_b128 v[5:8], v0 offset:6176
	ds_load_b128 v[9:12], v0 offset:6208
	ds_load_b128 v[13:16], v0 offset:4192
	.loc	1 62 26                         ; attention_bwd.py:62:26 @[ attention_bwd.py:200:26 ]
	v_dual_mov_b32 v183, v95 :: v_dual_mov_b32 v180, v92
	v_dual_mov_b32 v177, v89 :: v_dual_mov_b32 v144, v184
	;; [unrolled: 1-line block ×7, first 2 shown]
	v_mov_b32_e32 v151, v191
	v_dual_mov_b32 v175, v119 :: v_dual_mov_b32 v172, v116
	v_mov_b32_e32 v174, v118
	.loc	1 61 21                         ; attention_bwd.py:61:21 @[ attention_bwd.py:200:26 ]
	v_cvt_f16_f32_e32 v18, v62
	v_cvt_f16_f32_e64 v19, v235
	.loc	1 62 26                         ; attention_bwd.py:62:26 @[ attention_bwd.py:200:26 ]
	v_dual_mov_b32 v159, v127 :: v_dual_mov_b32 v156, v124
	v_dual_mov_b32 v169, v113 :: v_dual_mov_b32 v158, v126
	;; [unrolled: 1-line block ×11, first 2 shown]
	.loc	1 66 24                         ; attention_bwd.py:66:24 @[ attention_bwd.py:200:26 ]
	s_wait_loadcnt_dscnt 0x703
	v_wmma_f32_16x16x16_f16 v[200:207], v[1:4], v[33:36], 0
	s_wait_loadcnt 0x5
	v_wmma_f32_16x16x16_f16 v[72:79], v[1:4], v[37:40], 0
	.loc	1 58 21                         ; attention_bwd.py:58:21 @[ attention_bwd.py:200:26 ]
	v_lshlrev_b32_e32 v1, 6, v222
	.loc	1 66 24                         ; attention_bwd.py:66:24 @[ attention_bwd.py:200:26 ]
	s_wait_dscnt 0x2
	v_wmma_f32_16x16x16_f16 v[200:207], v[5:8], v[128:131], v[200:207]
	.loc	1 61 21                         ; attention_bwd.py:61:21 @[ attention_bwd.py:200:26 ]
	v_cvt_f16_f32_e64 v2, v220
	.loc	1 66 24                         ; attention_bwd.py:66:24 @[ attention_bwd.py:200:26 ]
	s_wait_loadcnt 0x4
	v_wmma_f32_16x16x16_f16 v[72:79], v[5:8], v[57:60], v[72:79]
	.loc	1 61 21                         ; attention_bwd.py:61:21 @[ attention_bwd.py:200:26 ]
	v_cvt_f16_f32_e64 v5, v217
	.loc	1 58 21                         ; attention_bwd.py:58:21 @[ attention_bwd.py:200:26 ]
	v_add3_u32 v45, 0, v1, v32
	ds_load_u16 v3, v45 offset:6720
	ds_load_u16 v4, v45 offset:6976
	s_wait_dscnt 0x1
	ds_load_u16_d16_hi v3, v45 offset:6848
	ds_load_u16 v8, v45 offset:6912
	s_wait_dscnt 0x0
	ds_load_u16_d16_hi v8, v45 offset:7040
	ds_load_u16_d16_hi v4, v45 offset:7104
	ds_load_u16 v20, v45 offset:7008
	ds_load_u16 v24, v45 offset:6944
	s_wait_dscnt 0x1
	ds_load_u16_d16_hi v20, v45 offset:7136
	.loc	1 66 24                         ; attention_bwd.py:66:24 @[ attention_bwd.py:200:26 ]
	ds_load_b128 v[25:28], v0 offset:4096
	ds_load_b128 v[29:32], v0 offset:4128
	.loc	1 61 21                         ; attention_bwd.py:61:21 @[ attention_bwd.py:200:26 ]
	v_cvt_f16_f32_e64 v1, v219
	v_cvt_f16_f32_e64 v6, v218
	;; [unrolled: 1-line block ×3, first 2 shown]
	.loc	1 66 24                         ; attention_bwd.py:66:24 @[ attention_bwd.py:200:26 ]
	s_wait_dscnt 0x1
	v_wmma_f32_16x16x16_f16 v[64:71], v[25:28], v[33:36], 0
	v_wmma_f32_16x16x16_f16 v[80:87], v[25:28], v[37:40], 0
	.loc	1 62 26                         ; attention_bwd.py:62:26 @[ attention_bwd.py:200:26 ]
	v_pack_b32_f16 v28, v2, v1
	.loc	1 66 24                         ; attention_bwd.py:66:24 @[ attention_bwd.py:200:26 ]
	s_wait_dscnt 0x0
	s_delay_alu instid0(VALU_DEP_3)
	v_wmma_f32_16x16x16_f16 v[64:71], v[29:32], v[128:131], v[64:71]
	.loc	1 61 21                         ; attention_bwd.py:61:21 @[ attention_bwd.py:200:26 ]
	v_cvt_f16_f32_e32 v1, v63
	.loc	1 66 24                         ; attention_bwd.py:66:24 @[ attention_bwd.py:200:26 ]
	v_wmma_f32_16x16x16_f16 v[80:87], v[29:32], v[57:60], v[80:87]
	.loc	1 58 21                         ; attention_bwd.py:58:21 @[ attention_bwd.py:200:26 ]
	ds_load_u16 v31, v45 offset:4704
	ds_load_u16 v30, v45 offset:4448
	;; [unrolled: 1-line block ×6, first 2 shown]
	v_dual_mov_b32 v60, v44 :: v_dual_mov_b32 v59, v43
	v_dual_mov_b32 v58, v42 :: v_dual_mov_b32 v57, v41
	.loc	1 61 21                         ; attention_bwd.py:61:21 @[ attention_bwd.py:200:26 ]
	v_cvt_f16_f32_e64 v2, v208
	.loc	1 62 26                         ; attention_bwd.py:62:26 @[ attention_bwd.py:200:26 ]
	v_pack_b32_f16 v27, v6, v5
	.loc	1 61 21                         ; attention_bwd.py:61:21 @[ attention_bwd.py:200:26 ]
	v_cvt_f16_f32_e64 v6, v236
	.loc	1 66 24                         ; attention_bwd.py:66:24 @[ attention_bwd.py:200:26 ]
	ds_load_b128 v[33:36], v0 offset:4160
	.loc	1 58 21                         ; attention_bwd.py:58:21 @[ attention_bwd.py:200:26 ]
	ds_load_u16 v43, v45 offset:4672
	ds_load_u16 v42, v45 offset:4416
	s_wait_dscnt 0x7
	ds_load_u16_d16_hi v30, v45 offset:4576
	ds_load_u16 v29, v45 offset:4192
	ds_load_u16 v44, v45 offset:4928
	;; [unrolled: 1-line block ×7, first 2 shown]
	s_wait_dscnt 0xd
	ds_load_u16_d16_hi v37, v45 offset:4224
	ds_load_u16_d16_hi v39, v45 offset:4736
	s_wait_dscnt 0xd
	ds_load_u16_d16_hi v38, v45 offset:4480
	.loc	1 62 26                         ; attention_bwd.py:62:26 @[ attention_bwd.py:200:26 ]
	v_pack_b32_f16 v26, v2, v1
	.loc	1 61 21                         ; attention_bwd.py:61:21 @[ attention_bwd.py:200:26 ]
	v_cvt_f16_f32_e64 v1, v238
	v_cvt_f16_f32_e32 v2, v56
	s_delay_alu instid0(VALU_DEP_1)
	.loc	1 62 26                         ; attention_bwd.py:62:26 @[ attention_bwd.py:200:26 ]
	v_pack_b32_f16 v25, v2, v1
	.loc	1 58 21                         ; attention_bwd.py:58:21 @[ attention_bwd.py:200:26 ]
	s_wait_dscnt 0xc
	ds_load_u16_d16_hi v43, v45 offset:4800
	ds_load_u16_d16_hi v40, v45 offset:4992
	ds_load_u16 v32, v45 offset:4960
	s_wait_dscnt 0xc
	ds_load_u16_d16_hi v29, v45 offset:4320
	ds_load_u16 v5, v45 offset:6144
	ds_load_u16 v1, v45 offset:6208
	s_wait_dscnt 0xd
	ds_load_u16_d16_hi v129, v45 offset:4512
	ds_load_u16_d16_hi v42, v45 offset:4544
	;; [unrolled: 1-line block ×3, first 2 shown]
	s_wait_dscnt 0xf
	ds_load_u16_d16_hi v130, v45 offset:4768
	ds_load_u16_d16_hi v31, v45 offset:4832
	s_wait_dscnt 0x10
	ds_load_u16_d16_hi v131, v45 offset:5024
	s_wait_dscnt 0x10
	;; [unrolled: 2-line block ×4, first 2 shown]
	ds_load_u16_d16_hi v32, v45 offset:5088
	ds_load_u16 v2, v45 offset:6464
	ds_load_u16 v21, v45 offset:6176
	;; [unrolled: 1-line block ×3, first 2 shown]
	s_wait_dscnt 0xd
	ds_load_u16_d16_hi v5, v45 offset:6272
	s_wait_dscnt 0xd
	ds_load_u16_d16_hi v1, v45 offset:6336
	.loc	1 62 26                         ; attention_bwd.py:62:26 @[ attention_bwd.py:200:26 ]
	v_wmma_f32_16x16x16_f16 v[176:183], v[37:40], v[25:28], v[176:183]
	s_wait_loadcnt_dscnt 0x207
	v_wmma_f32_16x16x16_f16 v[104:111], v[128:131], v[25:28], v[104:111]
	s_wait_loadcnt_dscnt 0x6
	v_wmma_f32_16x16x16_f16 v[96:103], v[41:44], v[25:28], v[96:103]
	s_wait_dscnt 0x5
	v_wmma_f32_16x16x16_f16 v[144:151], v[29:32], v[25:28], v[144:151]
	v_pack_b32_f16 v28, v7, v6
	.loc	1 61 21                         ; attention_bwd.py:61:21 @[ attention_bwd.py:200:26 ]
	scratch_load_b32 v6, off, off offset:416 ; 4-byte Folded Reload
	v_cvt_f16_f32_e32 v7, v61
	.loc	1 62 26                         ; attention_bwd.py:62:26 @[ attention_bwd.py:200:26 ]
	v_pack_b32_f16 v27, v19, v18
	.loc	1 61 21                         ; attention_bwd.py:61:21 @[ attention_bwd.py:200:26 ]
	s_wait_loadcnt 0x0
	v_cvt_f16_f32_e32 v6, v6
	s_delay_alu instid0(VALU_DEP_1)
	.loc	1 62 26                         ; attention_bwd.py:62:26 @[ attention_bwd.py:200:26 ]
	v_pack_b32_f16 v26, v7, v6
	.loc	1 61 21                         ; attention_bwd.py:61:21 @[ attention_bwd.py:200:26 ]
	s_clause 0x1                            ; 8-byte Folded Reload
	scratch_load_b32 v6, off, off offset:352
	scratch_load_b32 v7, off, off offset:384
	s_wait_loadcnt 0x1
	v_cvt_f16_f32_e32 v6, v6
	s_wait_loadcnt 0x0
	v_cvt_f16_f32_e32 v7, v7
	s_delay_alu instid0(VALU_DEP_1) | instskip(SKIP_2) | instid1(VALU_DEP_3)
	.loc	1 62 26                         ; attention_bwd.py:62:26 @[ attention_bwd.py:200:26 ]
	v_pack_b32_f16 v25, v7, v6
	.loc	1 61 21                         ; attention_bwd.py:61:21 @[ attention_bwd.py:200:26 ]
	v_cvt_f16_f32_e32 v6, v51
	v_cvt_f16_f32_e64 v7, v166
	.loc	1 62 26                         ; attention_bwd.py:62:26 @[ attention_bwd.py:200:26 ]
	v_wmma_f32_16x16x16_f16 v[152:159], v[128:131], v[25:28], v[152:159]
	s_clause 0x1                            ; 32-byte Folded Reload
	scratch_load_b128 v[128:131], off, off offset:96
	scratch_load_b128 v[132:135], off, off offset:112
	v_wmma_f32_16x16x16_f16 v[168:175], v[37:40], v[25:28], v[168:175]
	v_wmma_f32_16x16x16_f16 v[136:143], v[41:44], v[25:28], v[136:143]
	s_wait_loadcnt 0x0
	v_wmma_f32_16x16x16_f16 v[128:135], v[29:32], v[25:28], v[128:135]
	scratch_load_b128 v[25:28], off, off offset:1140 th:TH_LOAD_LU ; 16-byte Folded Reload
	.loc	1 66 24                         ; attention_bwd.py:66:24 @[ attention_bwd.py:200:26 ]
	s_wait_loadcnt 0x0
	v_wmma_f32_16x16x16_f16 v[64:71], v[33:36], v[25:28], v[64:71]
	v_wmma_f32_16x16x16_f16 v[200:207], v[9:12], v[25:28], v[200:207]
	scratch_load_b128 v[25:28], off, off offset:1124 th:TH_LOAD_LU ; 16-byte Folded Reload
	v_wmma_f32_16x16x16_f16 v[64:71], v[13:16], v[57:60], v[64:71]
	s_wait_loadcnt 0x0
	v_wmma_f32_16x16x16_f16 v[72:79], v[9:12], v[25:28], v[72:79]
	.loc	1 61 21                         ; attention_bwd.py:61:21 @[ attention_bwd.py:200:26 ]
	v_cvt_f16_f32_e64 v9, v233
	v_cvt_f16_f32_e32 v10, v50
	.loc	1 62 26                         ; attention_bwd.py:62:26 @[ attention_bwd.py:200:26 ]
	v_pack_b32_f16 v12, v7, v6
	.loc	1 61 21                         ; attention_bwd.py:61:21 @[ attention_bwd.py:200:26 ]
	v_cvt_f16_f32_e64 v6, v224
	v_cvt_f16_f32_e64 v7, v232
	.loc	1 66 24                         ; attention_bwd.py:66:24 @[ attention_bwd.py:200:26 ]
	v_wmma_f32_16x16x16_f16 v[80:87], v[33:36], v[25:28], v[80:87]
	.loc	1 62 26                         ; attention_bwd.py:62:26 @[ attention_bwd.py:200:26 ]
	v_pack_b32_f16 v11, v10, v9
	.loc	1 61 21                         ; attention_bwd.py:61:21 @[ attention_bwd.py:200:26 ]
	v_cvt_f16_f32_e64 v25, v167
	s_delay_alu instid0(VALU_DEP_4) | instskip(SKIP_3) | instid1(VALU_DEP_2)
	.loc	1 62 26                         ; attention_bwd.py:62:26 @[ attention_bwd.py:200:26 ]
	v_pack_b32_f16 v10, v7, v6
	.loc	1 61 21                         ; attention_bwd.py:61:21 @[ attention_bwd.py:200:26 ]
	v_cvt_f16_f32_e64 v6, v221
	v_cvt_f16_f32_e64 v7, v223
	.loc	1 66 24                         ; attention_bwd.py:66:24 @[ attention_bwd.py:200:26 ]
	v_wmma_f32_16x16x16_f16 v[80:87], v[13:16], v[160:163], v[80:87]
	.loc	1 62 26                         ; attention_bwd.py:62:26 @[ attention_bwd.py:200:26 ]
	v_pack_b32_f16 v9, v7, v6
	.loc	1 58 21                         ; attention_bwd.py:58:21 @[ attention_bwd.py:200:26 ]
	ds_load_u16 v7, v45 offset:6656
	ds_load_u16 v6, v45 offset:6400
	;; [unrolled: 1-line block ×4, first 2 shown]
	s_wait_dscnt 0x8
	ds_load_u16_d16_hi v2, v45 offset:6592
	s_wait_dscnt 0x4
	ds_load_u16_d16_hi v7, v45 offset:6784
	ds_load_u16 v23, v45 offset:6688
	s_wait_dscnt 0x5
	ds_load_u16_d16_hi v6, v45 offset:6528
	ds_load_u16 v22, v45 offset:6432
	s_wait_dscnt 0x6
	ds_load_u16_d16_hi v19, v45 offset:6880
	ds_load_u16_d16_hi v24, v45 offset:7072
	s_wait_dscnt 0x7
	ds_load_u16_d16_hi v18, v45 offset:6624
	s_wait_dscnt 0x5
	ds_load_u16_d16_hi v23, v45 offset:6816
	ds_load_u16_d16_hi v21, v45 offset:6304
	;; [unrolled: 1-line block ×3, first 2 shown]
	s_wait_dscnt 0x6
	ds_load_u16_d16_hi v22, v45 offset:6560
	.loc	1 62 26                         ; attention_bwd.py:62:26 @[ attention_bwd.py:200:26 ]
	v_wmma_f32_16x16x16_f16 v[176:183], v[5:8], v[9:12], v[176:183]
	v_wmma_f32_16x16x16_f16 v[96:103], v[1:4], v[9:12], v[96:103]
	s_wait_dscnt 0x1
	v_wmma_f32_16x16x16_f16 v[144:151], v[17:20], v[9:12], v[144:151]
	s_wait_dscnt 0x0
	v_wmma_f32_16x16x16_f16 v[104:111], v[21:24], v[9:12], v[104:111]
	.loc	1 61 21                         ; attention_bwd.py:61:21 @[ attention_bwd.py:200:26 ]
	s_clause 0x1                            ; 8-byte Folded Reload
	scratch_load_b32 v9, off, off
	scratch_load_b32 v10, off, off offset:32
	v_cvt_f16_f32_e64 v11, v165
	s_delay_alu instid0(VALU_DEP_1)
	.loc	1 62 26                         ; attention_bwd.py:62:26 @[ attention_bwd.py:200:26 ]
	v_pack_b32_f16 v11, v25, v11
	.loc	1 61 21                         ; attention_bwd.py:61:21 @[ attention_bwd.py:200:26 ]
	v_cvt_f16_f32_e64 v25, v248
	s_wait_loadcnt 0x1
	v_cvt_f16_f32_e32 v9, v9
	s_wait_loadcnt 0x0
	v_cvt_f16_f32_e32 v10, v10
	s_delay_alu instid0(VALU_DEP_1) | instskip(SKIP_2) | instid1(VALU_DEP_1)
	.loc	1 62 26                         ; attention_bwd.py:62:26 @[ attention_bwd.py:200:26 ]
	v_pack_b32_f16 v12, v10, v9
	.loc	1 61 21                         ; attention_bwd.py:61:21 @[ attention_bwd.py:200:26 ]
	v_cvt_f16_f32_e64 v9, v249
	v_cvt_f16_f32_e64 v10, v164
	.loc	1 62 26                         ; attention_bwd.py:62:26 @[ attention_bwd.py:200:26 ]
	v_pack_b32_f16 v10, v10, v9
	.loc	1 61 21                         ; attention_bwd.py:61:21 @[ attention_bwd.py:200:26 ]
	v_cvt_f16_f32_e64 v9, v231
	s_delay_alu instid0(VALU_DEP_1) | instskip(NEXT) | instid1(VALU_DEP_1)
	.loc	1 62 26                         ; attention_bwd.py:62:26 @[ attention_bwd.py:200:26 ]
	v_pack_b32_f16 v9, v25, v9
	v_wmma_f32_16x16x16_f16 v[136:143], v[1:4], v[9:12], v[136:143]
	.loc	1 66 24                         ; attention_bwd.py:66:24 @[ attention_bwd.py:200:26 ]
	ds_load_b128 v[0:3], v0 offset:6240
	.loc	1 62 26                         ; attention_bwd.py:62:26 @[ attention_bwd.py:200:26 ]
	v_wmma_f32_16x16x16_f16 v[168:175], v[5:8], v[9:12], v[168:175]
	v_wmma_f32_16x16x16_f16 v[152:159], v[21:24], v[9:12], v[152:159]
	;; [unrolled: 1-line block ×3, first 2 shown]
	s_clause 0x1                            ; 32-byte Folded Reload
	scratch_load_b128 v[8:11], off, off offset:128
	scratch_load_b128 v[12:15], off, off offset:144
	v_dual_mov_b32 v24, v112 :: v_dual_mov_b32 v31, v119
	v_dual_mov_b32 v16, v184 :: v_dual_mov_b32 v25, v113
	v_dual_mov_b32 v26, v114 :: v_dual_mov_b32 v27, v115
	v_dual_mov_b32 v28, v116 :: v_dual_mov_b32 v29, v117
	v_dual_mov_b32 v30, v118 :: v_dual_mov_b32 v17, v185
	v_dual_mov_b32 v18, v186 :: v_dual_mov_b32 v19, v187
	v_dual_mov_b32 v20, v188 :: v_dual_mov_b32 v21, v189
	v_mov_b32_e32 v22, v190
	.loc	1 66 24                         ; attention_bwd.py:66:24 @[ attention_bwd.py:200:26 ]
	s_wait_dscnt 0x0
	v_wmma_f32_16x16x16_f16 v[200:207], v[0:3], v[57:60], v[200:207]
	v_wmma_f32_16x16x16_f16 v[72:79], v[0:3], v[160:163], v[72:79]
	s_clause 0x1                            ; 32-byte Folded Reload
	scratch_load_b128 v[0:3], off, off offset:64
	scratch_load_b128 v[4:7], off, off offset:80
	v_mov_b32_e32 v23, v191
.LBB0_75:
                                        ; implicit-def: $vgpr255 : SGPR spill to VGPR lane
	.loc	1 69 26                         ; attention_bwd.py:69:26 @[ attention_bwd.py:200:26 ]
	v_writelane_b32 v252, s24, 26
	v_writelane_b32 v255, s42, 0
	v_add_nc_u32_e32 v226, v226, v222
	s_and_b32 vcc_lo, exec_lo, s33
	v_writelane_b32 v252, s25, 27
	v_writelane_b32 v255, s43, 1
	;; [unrolled: 1-line block ×25, first 2 shown]
	s_wait_alu depctr_sa_sdst(0)
	s_cbranch_vccnz .LBB0_77
; %bb.76:
	.loc	1 0 26 is_stmt 0                ; attention_bwd.py:0:26
	scratch_load_b128 v[188:191], off, off offset:448 th:TH_LOAD_LU ; 16-byte Folded Reload
	.loc	1 67 26 is_stmt 1               ; attention_bwd.py:67:26 @[ attention_bwd.py:200:26 ]
	v_dual_sub_f32 v36, v86, v54 :: v_dual_sub_f32 v37, v84, v52
	v_dual_sub_f32 v38, v87, v55 :: v_dual_sub_f32 v39, v82, v48
	;; [unrolled: 1-line block ×4, first 2 shown]
	s_wait_loadcnt 0x2
	v_dual_sub_f32 v0, v70, v54 :: v_dual_sub_f32 v1, v68, v52
	s_wait_loadcnt 0x1
	v_dual_sub_f32 v4, v71, v55 :: v_dual_sub_f32 v5, v69, v53
	v_dual_sub_f32 v6, v66, v48 :: v_dual_sub_f32 v7, v64, v46
	s_clause 0x1                            ; 32-byte Folded Reload
	scratch_load_b128 v[80:83], off, off offset:256 th:TH_LOAD_LU
	scratch_load_b128 v[84:87], off, off offset:272 th:TH_LOAD_LU
	v_dual_sub_f32 v8, v67, v49 :: v_dual_sub_f32 v9, v65, v47
	.loc	1 68 21                         ; attention_bwd.py:68:21 @[ attention_bwd.py:200:26 ]
	v_fma_mixlo_f16 v3, v220, v0, 0
	v_fma_mixlo_f16 v2, v218, v1, 0
	;; [unrolled: 1-line block ×4, first 2 shown]
	ds_load_b128 v[12:15], v226 offset:1024
	ds_load_b128 v[16:19], v226 offset:1056
	.loc	1 69 26                         ; attention_bwd.py:69:26 @[ attention_bwd.py:200:26 ]
	v_fma_mixhi_f16 v3, v219, v4, 0
	v_fma_mixhi_f16 v2, v217, v5, 0
	;; [unrolled: 1-line block ×4, first 2 shown]
	ds_load_b128 v[4:7], v226
	ds_load_b128 v[8:11], v226 offset:32
	ds_load_b128 v[20:23], v226 offset:2048
	;; [unrolled: 1-line block ×5, first 2 shown]
	v_dual_mov_b32 v68, v50 :: v_dual_mov_b32 v69, v51
	.loc	1 67 26                         ; attention_bwd.py:67:26 @[ attention_bwd.py:200:26 ]
	v_dual_sub_f32 v50, v75, v230 :: v_dual_sub_f32 v51, v73, v228
	v_dual_sub_f32 v64, v202, v229 :: v_dual_sub_f32 v65, v200, v227
	;; [unrolled: 1-line block ×3, first 2 shown]
	v_sub_f32_e32 v47, v74, v229
	v_sub_f32_e32 v49, v72, v227
	.loc	1 69 26                         ; attention_bwd.py:69:26 @[ attention_bwd.py:200:26 ]
	s_wait_dscnt 0x7
	v_wmma_f32_16x16x16_f16 v[192:199], v[12:15], v[0:3], v[192:199]
	s_wait_dscnt 0x5
	v_wmma_f32_16x16x16_f16 v[239:246], v[4:7], v[0:3], v[239:246]
	.loc	1 67 26                         ; attention_bwd.py:67:26 @[ attention_bwd.py:200:26 ]
	s_wait_loadcnt 0x2
	v_dual_sub_f32 v44, v78, v190 :: v_dual_sub_f32 v45, v76, v188
	v_sub_f32_e32 v46, v79, v191
	v_sub_f32_e32 v48, v77, v189
	v_dual_sub_f32 v52, v206, v190 :: v_dual_sub_f32 v53, v204, v188
	v_dual_sub_f32 v54, v207, v191 :: v_dual_sub_f32 v55, v205, v189
	s_clause 0x3                            ; 64-byte Folded Reload
	scratch_load_b128 v[184:187], off, off offset:288 th:TH_LOAD_LU
	scratch_load_b128 v[188:191], off, off offset:304 th:TH_LOAD_LU
	;; [unrolled: 1-line block ×4, first 2 shown]
	.loc	1 69 26                         ; attention_bwd.py:69:26 @[ attention_bwd.py:200:26 ]
	s_wait_loadcnt_dscnt 0x403
	v_wmma_f32_16x16x16_f16 v[80:87], v[20:23], v[0:3], v[80:87]
	s_wait_loadcnt_dscnt 0x201
	v_wmma_f32_16x16x16_f16 v[184:191], v[28:31], v[0:3], v[184:191]
	.loc	1 68 21                         ; attention_bwd.py:68:21 @[ attention_bwd.py:200:26 ]
	v_fma_mixlo_f16 v3, v237, v36, 0
	s_clause 0x1                            ; 8-byte Folded Reload
	scratch_load_b32 v0, off, off offset:384 th:TH_LOAD_LU
	scratch_load_b32 v36, off, off offset:416 th:TH_LOAD_LU
	v_fma_mixlo_f16 v1, v61, v39, 0
	v_fma_mixlo_f16 v2, v235, v37, 0
	.loc	1 69 26                         ; attention_bwd.py:69:26 @[ attention_bwd.py:200:26 ]
	v_fma_mixhi_f16 v3, v236, v38, 0
	s_delay_alu instid0(VALU_DEP_2)
	v_fma_mixhi_f16 v2, v62, v40, 0
	s_clause 0x1                            ; 32-byte Folded Reload
	scratch_load_b128 v[56:59], off, off offset:192 th:TH_LOAD_LU
	scratch_load_b128 v[60:63], off, off offset:208 th:TH_LOAD_LU
	s_wait_loadcnt 0x2
	v_fma_mixhi_f16 v1, v36, v42, 0
	scratch_load_b32 v36, off, off offset:352 th:TH_LOAD_LU ; 4-byte Folded Reload
	.loc	1 68 21                         ; attention_bwd.py:68:21 @[ attention_bwd.py:200:26 ]
	v_fma_mixlo_f16 v0, v0, v41, 0
	.loc	1 69 26                         ; attention_bwd.py:69:26 @[ attention_bwd.py:200:26 ]
	s_wait_loadcnt 0x0
	s_delay_alu instid0(VALU_DEP_1)
	v_fma_mixhi_f16 v0, v36, v43, 0
	s_clause 0x1                            ; 32-byte Folded Reload
	scratch_load_b128 v[36:39], off, off offset:160 th:TH_LOAD_LU
	scratch_load_b128 v[40:43], off, off offset:176 th:TH_LOAD_LU
	v_wmma_f32_16x16x16_f16 v[72:79], v[4:7], v[0:3], v[72:79]
	v_dual_mov_b32 v4, v164 :: v_dual_mov_b32 v5, v165
	v_dual_mov_b32 v6, v166 :: v_dual_mov_b32 v7, v167
	s_clause 0x1                            ; 32-byte Folded Reload
	scratch_load_b128 v[160:163], off, off offset:320 th:TH_LOAD_LU
	scratch_load_b128 v[164:167], off, off offset:336 th:TH_LOAD_LU
	v_wmma_f32_16x16x16_f16 v[56:63], v[20:23], v[0:3], v[56:63]
	s_wait_loadcnt 0x2
	v_wmma_f32_16x16x16_f16 v[36:43], v[28:31], v[0:3], v[36:43]
	s_wait_loadcnt 0x0
	v_wmma_f32_16x16x16_f16 v[160:167], v[12:15], v[0:3], v[160:167]
	.loc	1 68 21                         ; attention_bwd.py:68:21 @[ attention_bwd.py:200:26 ]
	v_fma_mixlo_f16 v3, v6, v52, 0
	v_fma_mixlo_f16 v2, v68, v53, 0
	;; [unrolled: 1-line block ×4, first 2 shown]
	s_delay_alu instid0(VALU_DEP_4) | instskip(NEXT) | instid1(VALU_DEP_4)
	.loc	1 69 26                         ; attention_bwd.py:69:26 @[ attention_bwd.py:200:26 ]
	v_fma_mixhi_f16 v3, v69, v54, 0
	v_fma_mixhi_f16 v2, v233, v55, 0
	s_delay_alu instid0(VALU_DEP_4) | instskip(NEXT) | instid1(VALU_DEP_4)
	v_fma_mixhi_f16 v1, v224, v66, 0
	v_fma_mixhi_f16 v0, v221, v67, 0
	s_delay_alu instid0(VALU_DEP_1)
	v_wmma_f32_16x16x16_f16 v[239:246], v[8:11], v[0:3], v[239:246]
	v_wmma_f32_16x16x16_f16 v[192:199], v[16:19], v[0:3], v[192:199]
	;; [unrolled: 1-line block ×3, first 2 shown]
	s_wait_dscnt 0x0
	v_wmma_f32_16x16x16_f16 v[184:191], v[32:35], v[0:3], v[184:191]
	.loc	1 68 21                         ; attention_bwd.py:68:21 @[ attention_bwd.py:200:26 ]
	scratch_load_b32 v0, off, off offset:32 th:TH_LOAD_LU ; 4-byte Folded Reload
	v_fma_mixlo_f16 v1, v4, v47, 0
	.loc	1 69 26                         ; attention_bwd.py:69:26 @[ attention_bwd.py:200:26 ]
	scratch_load_b32 v4, off, off th:TH_LOAD_LU ; 4-byte Folded Reload
	.loc	1 68 21                         ; attention_bwd.py:68:21 @[ attention_bwd.py:200:26 ]
	v_fma_mixlo_f16 v2, v7, v45, 0
	.loc	1 69 26                         ; attention_bwd.py:69:26 @[ attention_bwd.py:200:26 ]
	v_fma_mixhi_f16 v1, v249, v50, 0
	s_delay_alu instid0(VALU_DEP_2) | instskip(SKIP_4) | instid1(VALU_DEP_2)
	v_fma_mixhi_f16 v2, v5, v48, 0
	.loc	1 68 21                         ; attention_bwd.py:68:21 @[ attention_bwd.py:200:26 ]
	s_wait_loadcnt 0x1
	v_fma_mixlo_f16 v3, v0, v44, 0
	v_fma_mixlo_f16 v0, v248, v49, 0
	.loc	1 69 26                         ; attention_bwd.py:69:26 @[ attention_bwd.py:200:26 ]
	s_wait_loadcnt 0x0
	v_fma_mixhi_f16 v3, v4, v46, 0
	s_delay_alu instid0(VALU_DEP_2) | instskip(NEXT) | instid1(VALU_DEP_1)
	v_fma_mixhi_f16 v0, v231, v51, 0
	v_wmma_f32_16x16x16_f16 v[72:79], v[8:11], v[0:3], v[72:79]
	v_wmma_f32_16x16x16_f16 v[160:167], v[16:19], v[0:3], v[160:167]
	v_wmma_f32_16x16x16_f16 v[56:63], v[24:27], v[0:3], v[56:63]
	v_wmma_f32_16x16x16_f16 v[36:43], v[32:35], v[0:3], v[36:43]
	s_branch .LBB0_78
.Ltmp43:
.LBB0_77:
	.loc	1 0 26 is_stmt 0                ; attention_bwd.py:0:26
	s_clause 0xd                            ; 224-byte Folded Reload
	scratch_load_b128 v[36:39], off, off offset:160
	scratch_load_b128 v[40:43], off, off offset:176
	;; [unrolled: 1-line block ×12, first 2 shown]
	scratch_load_b128 v[128:131], off, off offset:96 th:TH_LOAD_LU
	scratch_load_b128 v[132:135], off, off offset:112 th:TH_LOAD_LU
	v_dual_mov_b32 v136, v209 :: v_dual_mov_b32 v137, v210
	v_dual_mov_b32 v159, v127 :: v_dual_mov_b32 v158, v126
	v_dual_mov_b32 v183, v95 :: v_dual_mov_b32 v182, v94
	v_dual_mov_b32 v138, v211 :: v_dual_mov_b32 v139, v212
	v_dual_mov_b32 v140, v213 :: v_dual_mov_b32 v141, v214
	v_dual_mov_b32 v142, v215 :: v_dual_mov_b32 v143, v216
	v_dual_mov_b32 v157, v125 :: v_dual_mov_b32 v156, v124
	v_dual_mov_b32 v155, v123 :: v_dual_mov_b32 v154, v122
	v_dual_mov_b32 v153, v121 :: v_dual_mov_b32 v152, v120
	v_dual_mov_b32 v175, v31 :: v_dual_mov_b32 v174, v30
	v_dual_mov_b32 v173, v29 :: v_dual_mov_b32 v172, v28
	v_dual_mov_b32 v171, v27 :: v_dual_mov_b32 v170, v26
	v_dual_mov_b32 v169, v25 :: v_dual_mov_b32 v168, v24
	v_dual_mov_b32 v151, v23 :: v_dual_mov_b32 v150, v22
	v_dual_mov_b32 v149, v21 :: v_dual_mov_b32 v148, v20
	v_dual_mov_b32 v147, v19 :: v_dual_mov_b32 v146, v18
	v_dual_mov_b32 v145, v17 :: v_dual_mov_b32 v144, v16
	s_wait_loadcnt 0x10
	v_dual_mov_b32 v103, v15 :: v_dual_mov_b32 v102, v14
	v_dual_mov_b32 v101, v13 :: v_dual_mov_b32 v100, v12
	;; [unrolled: 1-line block ×4, first 2 shown]
	s_wait_loadcnt 0xe
	v_dual_mov_b32 v111, v7 :: v_dual_mov_b32 v110, v6
	v_dual_mov_b32 v109, v5 :: v_dual_mov_b32 v108, v4
	;; [unrolled: 1-line block ×7, first 2 shown]
.LBB0_78:                               ; %._crit_edge371
	.loc	1 210 22 is_stmt 1              ; attention_bwd.py:210:22
	s_wait_loadcnt 0x4
	s_wait_kmcnt 0x0
	v_fma_mixlo_f16 v0, s4, v85, 0
	v_writelane_b32 v250, s20, 9
	v_fma_mixlo_f16 v91, s4, v239, 0
	v_fma_mixlo_f16 v117, s4, v240, 0
	;; [unrolled: 1-line block ×3, first 2 shown]
	scratch_store_b32 off, v0, off offset:608 ; 4-byte Folded Spill
	v_fma_mixlo_f16 v0, s4, v86, 0
	v_readlane_b32 s104, v250, 6
	v_fma_mixlo_f16 v92, s4, v242, 0
	v_fma_mixlo_f16 v116, s4, v243, 0
	v_fma_mixlo_f16 v202, s4, v244, 0
	scratch_store_b32 off, v0, off offset:604 ; 4-byte Folded Spill
	v_fma_mixlo_f16 v0, s4, v87, 0
	v_fma_mixlo_f16 v201, s4, v245, 0
	v_fma_mixlo_f16 v200, s4, v246, 0
	v_fma_mixlo_f16 v123, s4, v192, 0
	v_fma_mixlo_f16 v249, s4, v193, 0
	scratch_store_b32 off, v0, off offset:600 ; 4-byte Folded Spill
	v_fma_mixlo_f16 v0, s4, v184, 0
	v_fma_mixlo_f16 v248, s4, v194, 0
	;; [unrolled: 6-line block ×6, first 2 shown]
	v_fma_mixlo_f16 v120, s4, v74, 0
	v_fma_mixlo_f16 v121, s4, v75, 0
	;; [unrolled: 1-line block ×3, first 2 shown]
	scratch_store_b32 off, v0, off offset:580 ; 4-byte Folded Spill
	s_wait_loadcnt 0x2
	v_fma_mixlo_f16 v0, s4, v165, 0
	v_fma_mixlo_f16 v124, s4, v78, 0
	v_fma_mixlo_f16 v127, s4, v79, 0
	v_fma_mixlo_f16 v192, s4, v160, 0
	v_fma_mixlo_f16 v194, s4, v161, 0
	scratch_store_b32 off, v0, off offset:576 ; 4-byte Folded Spill
	v_fma_mixlo_f16 v0, s4, v166, 0
	v_fma_mixlo_f16 v195, s4, v162, 0
	;; [unrolled: 1-line block ×4, first 2 shown]
	.loc	1 154 10                        ; attention_bwd.py:154:10
	s_add_nc_u64 s[0:1], s[0:1], s[8:9]
	.loc	1 210 22                        ; attention_bwd.py:210:22
	scratch_store_b32 off, v0, off offset:544 ; 4-byte Folded Spill
	v_fma_mixlo_f16 v0, s4, v167, 0
	.loc	1 205 22                        ; attention_bwd.py:205:22
	v_cvt_f16_f32_e64 v27, v178
	v_cvt_f16_f32_e64 v79, v175
	;; [unrolled: 1-line block ×4, first 2 shown]
	.loc	1 210 22                        ; attention_bwd.py:210:22
	scratch_store_b32 off, v0, off offset:512 ; 4-byte Folded Spill
	v_fma_mixlo_f16 v0, s4, v56, 0
	.loc	1 205 22                        ; attention_bwd.py:205:22
	v_cvt_f16_f32_e64 v78, v136
	s_wait_loadcnt 0x1
	v_cvt_f16_f32_e64 v136, v130
	s_wait_loadcnt 0x0
	v_cvt_f16_f32_e64 v130, v132
	v_cvt_f16_f32_e64 v230, v137
	.loc	1 210 22                        ; attention_bwd.py:210:22
	scratch_store_b32 off, v0, off offset:480 ; 4-byte Folded Spill
	v_fma_mixlo_f16 v0, s4, v57, 0
	.loc	1 205 22                        ; attention_bwd.py:205:22
	v_cvt_f16_f32_e64 v137, v129
	v_cvt_f16_f32_e64 v129, v133
	v_cvt_f16_f32_e64 v178, v108
	v_cvt_f16_f32_e64 v160, v96
	.loc	1 210 22                        ; attention_bwd.py:210:22
	scratch_store_b32 off, v0, off offset:448 ; 4-byte Folded Spill
	v_fma_mixlo_f16 v0, s4, v58, 0
	.loc	1 205 22                        ; attention_bwd.py:205:22
	v_cvt_f16_f32_e64 v161, v97
	v_cvt_f16_f32_e64 v162, v98
	;; [unrolled: 8-line block ×8, first 2 shown]
	v_cvt_f16_f32_e64 v168, v168
	v_cvt_f16_f32_e64 v169, v169
	.loc	1 210 22                        ; attention_bwd.py:210:22
	scratch_store_b32 off, v0, off offset:224 ; 4-byte Folded Spill
	v_fma_mixlo_f16 v0, s4, v37, 0
	.loc	1 153 10                        ; attention_bwd.py:153:10
	v_writelane_b32 v255, s12, 21
	.loc	1 205 22                        ; attention_bwd.py:205:22
	v_cvt_f16_f32_e64 v170, v170
	v_cvt_f16_f32_e64 v171, v171
	;; [unrolled: 1-line block ×3, first 2 shown]
	.loc	1 210 22                        ; attention_bwd.py:210:22
	scratch_store_b32 off, v0, off offset:192 ; 4-byte Folded Spill
	v_fma_mixlo_f16 v0, s4, v38, 0
	.loc	1 205 22                        ; attention_bwd.py:205:22
	v_cvt_f16_f32_e64 v173, v173
	v_cvt_f16_f32_e64 v131, v131
	.loc	1 153 10                        ; attention_bwd.py:153:10
	v_writelane_b32 v255, s13, 22
	v_readlane_b32 s102, v253, 7
	.loc	1 210 22                        ; attention_bwd.py:210:22
	scratch_store_b32 off, v0, off offset:160 ; 4-byte Folded Spill
	v_fma_mixlo_f16 v0, s4, v39, 0
	.loc	1 205 22                        ; attention_bwd.py:205:22
	v_cvt_f16_f32_e64 v39, v179
	v_cvt_f16_f32_e64 v179, v109
	v_cvt_f16_f32_e64 v109, v135
	.loc	1 153 10                        ; attention_bwd.py:153:10
	v_writelane_b32 v255, s14, 23
	.loc	1 210 22                        ; attention_bwd.py:210:22
	scratch_store_b32 off, v0, off offset:128 ; 4-byte Folded Spill
	v_fma_mixlo_f16 v0, s4, v40, 0
	.loc	1 205 22                        ; attention_bwd.py:205:22
	v_cvt_f16_f32_e64 v40, v156
	v_readlane_b32 s103, v253, 8
	.loc	1 153 10                        ; attention_bwd.py:153:10
	v_writelane_b32 v255, s15, 24
	v_readlane_b32 s98, v253, 9
	.loc	1 210 22                        ; attention_bwd.py:210:22
	scratch_store_b32 off, v0, off offset:96 ; 4-byte Folded Spill
	v_fma_mixlo_f16 v0, s4, v41, 0
	v_readlane_b32 s99, v253, 10
	.loc	1 220 20                        ; attention_bwd.py:220:20
	v_writelane_b32 v255, s22, 25
	v_readlane_b32 s94, v253, 13
	v_readlane_b32 s95, v253, 14
	.loc	1 210 22                        ; attention_bwd.py:210:22
	scratch_store_b32 off, v0, off offset:64 ; 4-byte Folded Spill
	v_fma_mixlo_f16 v0, s4, v42, 0
	v_readlane_b32 s100, v253, 15
	v_readlane_b32 s101, v253, 16
	;; [unrolled: 1-line block ×4, first 2 shown]
	scratch_store_b32 off, v0, off offset:32 ; 4-byte Folded Spill
	v_fma_mixlo_f16 v0, s4, v43, 0
	.loc	1 165 36                        ; attention_bwd.py:165:36
	s_lshr_b32 s4, s20, 1
	v_readlane_b32 s90, v253, 27
	v_readlane_b32 s91, v253, 28
	;; [unrolled: 1-line block ×3, first 2 shown]
	scratch_store_b32 off, v0, off          ; 4-byte Folded Spill
	.loc	1 165 23 is_stmt 0              ; attention_bwd.py:165:23
	scratch_load_b32 v0, off, off offset:1360 ; 4-byte Folded Reload
	v_readlane_b32 s89, v253, 30
	v_readlane_b32 s86, v253, 31
	;; [unrolled: 1-line block ×55, first 2 shown]
	.loc	1 220 20 is_stmt 1              ; attention_bwd.py:220:20
	v_writelane_b32 v255, s23, 26
	v_readlane_b32 s20, v251, 3
	v_readlane_b32 s21, v251, 4
	;; [unrolled: 1-line block ×12, first 2 shown]
	.loc	1 165 23                        ; attention_bwd.py:165:23
	s_wait_loadcnt 0x0
	s_wait_alu depctr_sa_sdst(0)
	v_or3_b32 v4, s4, v0, s104
	v_readlane_b32 s4, v252, 13
	v_readlane_b32 s5, v252, 14
	s_delay_alu instid0(VALU_DEP_3) | instskip(SKIP_1) | instid1(VALU_DEP_2)
	.loc	1 171 38                        ; attention_bwd.py:171:38
	v_mul_lo_u32 v0, s10, v4
	.loc	1 165 23                        ; attention_bwd.py:165:23
	v_or_b32_e32 v4, 64, v4
	.loc	1 204 19                        ; attention_bwd.py:204:19
	v_ashrrev_i32_e32 v1, 31, v0
	s_delay_alu instid0(VALU_DEP_1)
	v_lshlrev_b64_e32 v[235:236], 1, v[0:1]
	.loc	1 171 69                        ; attention_bwd.py:171:69
	scratch_load_b32 v0, off, off offset:1412 th:TH_LOAD_LU ; 4-byte Folded Reload
	.loc	1 204 19                        ; attention_bwd.py:204:19
	v_add_co_u32 v5, vcc_lo, s0, v235
	s_wait_alu depctr_va_vcc(0)
	v_add_co_ci_u32_e64 v6, null, s1, v236, vcc_lo
	.loc	1 171 69                        ; attention_bwd.py:171:69
	s_wait_loadcnt 0x0
	v_mul_lo_u32 v12, s11, v0
	s_delay_alu instid0(VALU_DEP_1) | instskip(SKIP_4) | instid1(VALU_DEP_3)
	v_mad_co_u64_u32 v[0:1], null, s11, 3, v[12:13]
	v_mad_co_u64_u32 v[9:10], null, s11, 7, v[12:13]
	v_add_nc_u32_e32 v10, s11, v12
	v_mad_co_u64_u32 v[2:3], null, s11, 5, v[12:13]
	v_mad_co_u64_u32 v[7:8], null, s11, 6, v[12:13]
	.loc	1 204 50                        ; attention_bwd.py:204:50
	v_ashrrev_i32_e32 v11, 31, v10
	v_ashrrev_i32_e32 v1, 31, v0
	.loc	1 171 69                        ; attention_bwd.py:171:69
	v_mad_co_u64_u32 v[14:15], null, s11, 17, v[12:13]
	v_mad_co_u64_u32 v[16:17], null, s11, 18, v[12:13]
	s_delay_alu instid0(VALU_DEP_4)
	.loc	1 204 50                        ; attention_bwd.py:204:50
	v_lshlrev_b64_e32 v[209:210], 1, v[10:11]
	.loc	1 171 69                        ; attention_bwd.py:171:69
	v_lshl_add_u32 v10, s11, 1, v12
	.loc	1 204 50                        ; attention_bwd.py:204:50
	v_lshlrev_b64_e32 v[213:214], 1, v[0:1]
	.loc	1 171 69                        ; attention_bwd.py:171:69
	v_add_nc_u32_e32 v0, s31, v12
	v_mad_co_u64_u32 v[18:19], null, s11, 19, v[12:13]
	v_mad_co_u64_u32 v[20:21], null, s11, 21, v[12:13]
	;; [unrolled: 1-line block ×16, first 2 shown]
	.loc	1 204 50                        ; attention_bwd.py:204:50
	v_ashrrev_i32_e32 v13, 31, v12
	v_ashrrev_i32_e32 v11, 31, v10
	;; [unrolled: 1-line block ×5, first 2 shown]
	v_lshlrev_b64_e32 v[207:208], 1, v[12:13]
	v_lshlrev_b64_e32 v[211:212], 1, v[10:11]
	;; [unrolled: 1-line block ×3, first 2 shown]
	.loc	1 171 69                        ; attention_bwd.py:171:69
	v_add_nc_u32_e32 v0, s34, v12
	.loc	1 204 50                        ; attention_bwd.py:204:50
	v_ashrrev_i32_e32 v10, 31, v9
	v_lshlrev_b64_e32 v[217:218], 1, v[2:3]
	v_add_co_u32 v30, vcc_lo, v5, v207
	s_wait_alu depctr_va_vcc(0)
	v_add_co_ci_u32_e64 v31, null, v6, v208, vcc_lo
	v_add_co_u32 v36, vcc_lo, v5, v209
	v_ashrrev_i32_e32 v1, 31, v0
	s_wait_alu depctr_va_vcc(0)
	v_add_co_ci_u32_e64 v37, null, v6, v210, vcc_lo
	v_add_co_u32 v44, vcc_lo, v5, v211
	s_wait_alu depctr_va_vcc(0)
	v_add_co_ci_u32_e64 v45, null, v6, v212, vcc_lo
	v_add_co_u32 v48, vcc_lo, v5, v213
	v_lshlrev_b64_e32 v[219:220], 1, v[7:8]
	v_ashrrev_i32_e32 v15, 31, v14
	s_wait_alu depctr_va_vcc(0)
	v_add_co_ci_u32_e64 v49, null, v6, v214, vcc_lo
	v_add_co_u32 v62, vcc_lo, v5, v215
	v_lshlrev_b64_e32 v[221:222], 1, v[9:10]
	v_lshlrev_b64_e32 v[94:95], 1, v[0:1]
	.loc	1 171 69                        ; attention_bwd.py:171:69
	v_add_nc_u32_e32 v0, s30, v12
	.loc	1 204 50                        ; attention_bwd.py:204:50
	v_ashrrev_i32_e32 v17, 31, v16
	s_wait_alu depctr_va_vcc(0)
	v_add_co_ci_u32_e64 v63, null, v6, v216, vcc_lo
	v_add_co_u32 v64, vcc_lo, v5, v217
	v_ashrrev_i32_e32 v19, 31, v18
	s_wait_alu depctr_va_vcc(0)
	v_add_co_ci_u32_e64 v65, null, v6, v218, vcc_lo
	v_add_co_u32 v66, vcc_lo, v5, v219
	v_lshlrev_b64_e32 v[80:81], 1, v[14:15]
	v_ashrrev_i32_e32 v1, 31, v0
	v_ashrrev_i32_e32 v21, 31, v20
	s_wait_alu depctr_va_vcc(0)
	v_add_co_ci_u32_e64 v67, null, v6, v220, vcc_lo
	v_add_co_u32 v68, vcc_lo, v5, v221
	v_lshlrev_b64_e32 v[88:89], 1, v[16:17]
	s_wait_alu depctr_va_vcc(0)
	v_add_co_ci_u32_e64 v69, null, v6, v222, vcc_lo
	v_add_co_u32 v70, vcc_lo, v5, v94
	v_lshlrev_b64_e32 v[84:85], 1, v[18:19]
	.loc	1 171 69                        ; attention_bwd.py:171:69
	v_add_nc_u32_e32 v76, s28, v12
	.loc	1 204 50                        ; attention_bwd.py:204:50
	v_ashrrev_i32_e32 v24, 31, v23
	s_wait_alu depctr_va_vcc(0)
	v_add_co_ci_u32_e64 v71, null, v6, v95, vcc_lo
	v_add_co_u32 v13, vcc_lo, v5, v80
	v_lshlrev_b64_e32 v[237:238], 1, v[0:1]
	v_lshlrev_b64_e32 v[239:240], 1, v[20:21]
	.loc	1 205 22                        ; attention_bwd.py:205:22
	v_cvt_f16_f32_e64 v17, v176
	v_cvt_f16_f32_e64 v21, v177
	.loc	1 204 50                        ; attention_bwd.py:204:50
	v_ashrrev_i32_e32 v26, 31, v25
	s_wait_alu depctr_va_vcc(0)
	v_add_co_ci_u32_e64 v14, null, v6, v81, vcc_lo
	v_add_co_u32 v15, vcc_lo, v5, v88
	v_ashrrev_i32_e32 v77, 31, v76
	s_wait_alu depctr_va_vcc(0)
	v_add_co_ci_u32_e64 v16, null, v6, v89, vcc_lo
	v_add_co_u32 v72, vcc_lo, v5, v84
	v_lshlrev_b64_e32 v[190:191], 1, v[23:24]
	.loc	1 205 22                        ; attention_bwd.py:205:22
	s_clause 0x1
	global_store_b16 v[30:31], v17, off
	global_store_b16 v[36:37], v21, off
	.loc	1 204 50                        ; attention_bwd.py:204:50
	v_ashrrev_i32_e32 v30, 31, v29
	.loc	1 205 22                        ; attention_bwd.py:205:22
	global_store_b16 v[44:45], v27, off
	.loc	1 171 69                        ; attention_bwd.py:171:69
	v_add_nc_u32_e32 v44, s27, v12
	.loc	1 204 50                        ; attention_bwd.py:204:50
	s_wait_alu depctr_va_vcc(0)
	v_add_co_ci_u32_e64 v73, null, v6, v85, vcc_lo
	v_add_co_u32 v74, vcc_lo, v5, v237
	.loc	1 205 22                        ; attention_bwd.py:205:22
	v_cvt_f16_f32_e64 v11, v174
	.loc	1 204 50                        ; attention_bwd.py:204:50
	v_lshlrev_b64_e32 v[174:175], 1, v[25:26]
	v_ashrrev_i32_e32 v34, 31, v33
	s_wait_alu depctr_va_vcc(0)
	v_add_co_ci_u32_e64 v75, null, v6, v238, vcc_lo
	v_add_co_u32 v19, vcc_lo, v5, v239
	.loc	1 205 22                        ; attention_bwd.py:205:22
	v_cvt_f16_f32_e64 v42, v180
	.loc	1 204 50                        ; attention_bwd.py:204:50
	v_lshlrev_b64_e32 v[241:242], 1, v[76:77]
	v_ashrrev_i32_e32 v36, 31, v35
	s_wait_alu depctr_va_vcc(0)
	v_add_co_ci_u32_e64 v20, null, v6, v240, vcc_lo
	v_add_co_u32 v23, vcc_lo, v5, v190
	v_lshlrev_b64_e32 v[243:244], 1, v[29:30]
	v_ashrrev_i32_e32 v45, 31, v44
	.loc	1 205 22                        ; attention_bwd.py:205:22
	v_cvt_f16_f32_e64 v52, v181
	v_cvt_f16_f32_e64 v54, v182
	.loc	1 204 50                        ; attention_bwd.py:204:50
	s_wait_alu depctr_va_vcc(0)
	v_add_co_ci_u32_e64 v24, null, v6, v191, vcc_lo
	v_add_co_u32 v25, vcc_lo, v5, v174
	v_lshlrev_b64_e32 v[245:246], 1, v[33:34]
	.loc	1 205 22                        ; attention_bwd.py:205:22
	s_clause 0x1
	global_store_b16 v[48:49], v39, off
	global_store_b16 v[62:63], v42, off
	.loc	1 204 50                        ; attention_bwd.py:204:50
	v_ashrrev_i32_e32 v42, 31, v41
	s_wait_alu depctr_va_vcc(0)
	v_add_co_ci_u32_e64 v26, null, v6, v175, vcc_lo
	v_add_co_u32 v29, vcc_lo, v5, v241
	v_lshlrev_b64_e32 v[102:103], 1, v[35:36]
	.loc	1 171 69                        ; attention_bwd.py:171:69
	v_add_nc_u32_e32 v62, s29, v12
	.loc	1 204 50                        ; attention_bwd.py:204:50
	v_lshlrev_b64_e32 v[125:126], 1, v[44:45]
	v_ashrrev_i32_e32 v44, 31, v43
	s_wait_alu depctr_va_vcc(0)
	v_add_co_ci_u32_e64 v30, null, v6, v242, vcc_lo
	v_add_co_u32 v76, vcc_lo, v5, v243
	.loc	1 205 22                        ; attention_bwd.py:205:22
	v_cvt_f16_f32_e64 v56, v183
	v_cvt_f16_f32_e32 v58, v104
	v_cvt_f16_f32_e32 v60, v105
	s_clause 0x1
	global_store_b16 v[64:65], v52, off
	global_store_b16 v[66:67], v54, off
	.loc	1 204 50                        ; attention_bwd.py:204:50
	v_ashrrev_i32_e32 v48, 31, v47
	v_ashrrev_i32_e32 v54, 31, v53
	s_wait_alu depctr_va_vcc(0)
	v_add_co_ci_u32_e64 v77, null, v6, v244, vcc_lo
	v_add_co_u32 v33, vcc_lo, v5, v245
	v_lshlrev_b64_e32 v[31:32], 1, v[41:42]
	v_ashrrev_i32_e32 v63, 31, v62
	s_wait_alu depctr_va_vcc(0)
	v_add_co_ci_u32_e64 v34, null, v6, v246, vcc_lo
	v_add_co_u32 v35, vcc_lo, v5, v102
	v_lshlrev_b64_e32 v[37:38], 1, v[43:44]
	v_ashrrev_i32_e32 v52, 31, v51
	s_wait_alu depctr_va_vcc(0)
	v_add_co_ci_u32_e64 v36, null, v6, v103, vcc_lo
	v_add_co_u32 v132, vcc_lo, v5, v125
	.loc	1 205 22                        ; attention_bwd.py:205:22
	global_store_b16 v[68:69], v56, off
	.loc	1 204 50                        ; attention_bwd.py:204:50
	v_lshlrev_b64_e32 v[65:66], 1, v[47:48]
	.loc	1 205 22                        ; attention_bwd.py:205:22
	s_clause 0x1
	global_store_b16 v[70:71], v58, off
	global_store_b16 v[13:14], v60, off
	.loc	1 204 50                        ; attention_bwd.py:204:50
	v_lshlrev_b64_e32 v[9:10], 1, v[53:54]
	.loc	1 171 69                        ; attention_bwd.py:171:69
	v_add_nc_u32_e32 v53, s26, v12
	.loc	1 204 50                        ; attention_bwd.py:204:50
	v_ashrrev_i32_e32 v60, 31, v59
	s_wait_alu depctr_va_vcc(0)
	v_add_co_ci_u32_e64 v133, null, v6, v126, vcc_lo
	v_add_co_u32 v41, vcc_lo, v5, v31
	v_lshlrev_b64_e32 v[27:28], 1, v[62:63]
	v_ashrrev_i32_e32 v56, 31, v55
	s_wait_alu depctr_va_vcc(0)
	v_add_co_ci_u32_e64 v42, null, v6, v32, vcc_lo
	v_add_co_u32 v43, vcc_lo, v5, v37
	v_lshlrev_b64_e32 v[70:71], 1, v[51:52]
	v_ashrrev_i32_e32 v54, 31, v53
	v_lshlrev_b64_e32 v[0:1], 1, v[59:60]
	.loc	1 171 38                        ; attention_bwd.py:171:38
	v_mul_lo_u32 v59, s10, v4
	.loc	1 204 50                        ; attention_bwd.py:204:50
	s_wait_alu depctr_va_vcc(0)
	v_add_co_ci_u32_e64 v44, null, v6, v38, vcc_lo
	v_add_co_u32 v47, vcc_lo, v5, v65
	v_ashrrev_i32_e32 v58, 31, v57
	s_wait_alu depctr_va_vcc(0)
	v_add_co_ci_u32_e64 v48, null, v6, v66, vcc_lo
	v_add_co_u32 v63, vcc_lo, v5, v27
	v_lshlrev_b64_e32 v[21:22], 1, v[55:56]
	s_wait_alu depctr_va_vcc(0)
	v_add_co_ci_u32_e64 v64, null, v6, v28, vcc_lo
	v_add_co_u32 v51, vcc_lo, v5, v70
	v_lshlrev_b64_e32 v[17:18], 1, v[53:54]
	.loc	1 205 22                        ; attention_bwd.py:205:22
	v_cvt_f16_f32_e64 v176, v106
	.loc	1 204 50                        ; attention_bwd.py:204:50
	v_ashrrev_i32_e32 v62, 31, v61
	s_wait_alu depctr_va_vcc(0)
	v_add_co_ci_u32_e64 v52, null, v6, v71, vcc_lo
	v_add_co_u32 v13, vcc_lo, v5, v9
	v_lshlrev_b64_e32 v[2:3], 1, v[57:58]
	.loc	1 204 19 is_stmt 0              ; attention_bwd.py:204:19
	v_ashrrev_i32_e32 v60, 31, v59
	.loc	1 204 50                        ; attention_bwd.py:204:50
	s_wait_alu depctr_va_vcc(0)
	v_add_co_ci_u32_e64 v14, null, v6, v10, vcc_lo
	v_add_co_u32 v55, vcc_lo, v5, v21
	s_wait_alu depctr_va_vcc(0)
	v_add_co_ci_u32_e64 v56, null, v6, v22, vcc_lo
	.loc	1 205 22 is_stmt 1              ; attention_bwd.py:205:22
	global_store_b16 v[15:16], v176, off
	.loc	1 204 50                        ; attention_bwd.py:204:50
	v_add_co_u32 v15, vcc_lo, v5, v17
	v_lshlrev_b64_e32 v[7:8], 1, v[61:62]
	s_wait_alu depctr_va_vcc(0)
	v_add_co_ci_u32_e64 v16, null, v6, v18, vcc_lo
	v_add_co_u32 v53, vcc_lo, v5, v2
	.loc	1 204 19 is_stmt 0              ; attention_bwd.py:204:19
	v_lshlrev_b64_e32 v[86:87], 1, v[59:60]
	.loc	1 204 50                        ; attention_bwd.py:204:50
	s_wait_alu depctr_va_vcc(0)
	v_add_co_ci_u32_e64 v54, null, v6, v3, vcc_lo
	v_add_co_u32 v57, vcc_lo, v5, v0
	s_wait_alu depctr_va_vcc(0)
	v_add_co_ci_u32_e64 v58, null, v6, v1, vcc_lo
	v_add_co_u32 v5, vcc_lo, v5, v7
	.loc	1 205 22 is_stmt 1              ; attention_bwd.py:205:22
	v_cvt_f16_f32_e64 v177, v107
	.loc	1 204 50                        ; attention_bwd.py:204:50
	s_wait_alu depctr_va_vcc(0)
	v_add_co_ci_u32_e64 v6, null, v6, v8, vcc_lo
	.loc	1 204 19 is_stmt 0              ; attention_bwd.py:204:19
	v_add_co_u32 v4, vcc_lo, s0, v86
	.loc	1 205 22 is_stmt 1              ; attention_bwd.py:205:22
	v_cvt_f16_f32_e64 v180, v110
	.loc	1 204 19                        ; attention_bwd.py:204:19
	s_wait_alu depctr_va_vcc(0)
	v_add_co_ci_u32_e64 v12, null, s1, v87, vcc_lo
	.loc	1 205 22                        ; attention_bwd.py:205:22
	s_clause 0x2
	global_store_b16 v[72:73], v177, off
	global_store_b16 v[74:75], v178, off
	;; [unrolled: 1-line block ×3, first 2 shown]
	.loc	1 204 50                        ; attention_bwd.py:204:50
	v_add_co_u32 v19, vcc_lo, v4, v207
	.loc	1 205 22                        ; attention_bwd.py:205:22
	v_cvt_f16_f32_e64 v181, v111
	.loc	1 204 50                        ; attention_bwd.py:204:50
	s_wait_alu depctr_va_vcc(0)
	v_add_co_ci_u32_e64 v20, null, v12, v208, vcc_lo
	.loc	1 205 22                        ; attention_bwd.py:205:22
	global_store_b16 v[23:24], v180, off
	.loc	1 204 50                        ; attention_bwd.py:204:50
	v_add_co_u32 v23, vcc_lo, v4, v209
	s_wait_alu depctr_va_vcc(0)
	v_add_co_ci_u32_e64 v24, null, v12, v210, vcc_lo
	v_add_co_u32 v68, vcc_lo, v4, v211
	s_wait_alu depctr_va_vcc(0)
	v_add_co_ci_u32_e64 v69, null, v12, v212, vcc_lo
	.loc	1 205 22                        ; attention_bwd.py:205:22
	global_store_b16 v[25:26], v181, off
	.loc	1 204 50                        ; attention_bwd.py:204:50
	v_add_co_u32 v25, vcc_lo, v4, v213
	s_wait_alu depctr_va_vcc(0)
	v_add_co_ci_u32_e64 v26, null, v12, v214, vcc_lo
	.loc	1 205 22                        ; attention_bwd.py:205:22
	global_store_b16 v[29:30], v160, off
	.loc	1 204 50                        ; attention_bwd.py:204:50
	v_add_co_u32 v29, vcc_lo, v4, v215
	s_wait_alu depctr_va_vcc(0)
	v_add_co_ci_u32_e64 v30, null, v12, v216, vcc_lo
	v_add_co_u32 v134, vcc_lo, v4, v217
	s_wait_alu depctr_va_vcc(0)
	v_add_co_ci_u32_e64 v135, null, v12, v218, vcc_lo
	v_add_co_u32 v140, vcc_lo, v4, v219
	.loc	1 205 22                        ; attention_bwd.py:205:22
	global_store_b16 v[76:77], v161, off
	.loc	1 204 50                        ; attention_bwd.py:204:50
	s_wait_alu depctr_va_vcc(0)
	v_add_co_ci_u32_e64 v141, null, v12, v220, vcc_lo
	.loc	1 205 22                        ; attention_bwd.py:205:22
	global_store_b16 v[33:34], v162, off
	.loc	1 204 50                        ; attention_bwd.py:204:50
	v_add_co_u32 v33, vcc_lo, v4, v221
	s_wait_alu depctr_va_vcc(0)
	v_add_co_ci_u32_e64 v34, null, v12, v222, vcc_lo
	v_add_co_u32 v142, vcc_lo, v4, v94
	.loc	1 205 22                        ; attention_bwd.py:205:22
	v_cvt_f16_f32_e64 v182, v144
	.loc	1 204 50                        ; attention_bwd.py:204:50
	s_wait_alu depctr_va_vcc(0)
	v_add_co_ci_u32_e64 v143, null, v12, v95, vcc_lo
	v_add_co_u32 v144, vcc_lo, v4, v80
	.loc	1 205 22                        ; attention_bwd.py:205:22
	v_cvt_f16_f32_e64 v183, v145
	global_store_b16 v[35:36], v163, off
	.loc	1 204 50                        ; attention_bwd.py:204:50
	s_wait_alu depctr_va_vcc(0)
	v_add_co_ci_u32_e64 v145, null, v12, v81, vcc_lo
	.loc	1 205 22                        ; attention_bwd.py:205:22
	global_store_b16 v[132:133], v164, off
	.loc	1 204 50                        ; attention_bwd.py:204:50
	v_add_co_u32 v132, vcc_lo, v4, v88
	s_wait_alu depctr_va_vcc(0)
	v_add_co_ci_u32_e64 v133, null, v12, v89, vcc_lo
	v_add_co_u32 v146, vcc_lo, v4, v84
	s_wait_alu depctr_va_vcc(0)
	v_add_co_ci_u32_e64 v147, null, v12, v85, vcc_lo
	v_add_co_u32 v148, vcc_lo, v4, v237
	.loc	1 205 22                        ; attention_bwd.py:205:22
	global_store_b16 v[41:42], v165, off
	.loc	1 204 50                        ; attention_bwd.py:204:50
	s_wait_alu depctr_va_vcc(0)
	v_add_co_ci_u32_e64 v149, null, v12, v238, vcc_lo
	.loc	1 205 22                        ; attention_bwd.py:205:22
	global_store_b16 v[43:44], v166, off
	.loc	1 204 50                        ; attention_bwd.py:204:50
	v_add_co_u32 v44, vcc_lo, v4, v239
	s_wait_alu depctr_va_vcc(0)
	v_add_co_ci_u32_e64 v45, null, v12, v240, vcc_lo
	v_add_co_u32 v150, vcc_lo, v4, v190
	s_wait_alu depctr_va_vcc(0)
	v_add_co_ci_u32_e64 v151, null, v12, v191, vcc_lo
	;; [unrolled: 3-line block ×4, first 2 shown]
	v_add_co_u32 v156, vcc_lo, v4, v243
	.loc	1 205 22                        ; attention_bwd.py:205:22
	s_clause 0x1
	global_store_b16 v[47:48], v167, off
	global_store_b16 v[63:64], v182, off
	.loc	1 204 50                        ; attention_bwd.py:204:50
	s_wait_alu depctr_va_vcc(0)
	v_add_co_ci_u32_e64 v157, null, v12, v244, vcc_lo
	.loc	1 205 22                        ; attention_bwd.py:205:22
	global_store_b16 v[51:52], v183, off
	.loc	1 204 50                        ; attention_bwd.py:204:50
	v_add_co_u32 v51, vcc_lo, v4, v245
	s_wait_alu depctr_va_vcc(0)
	v_add_co_ci_u32_e64 v52, null, v12, v246, vcc_lo
	v_add_co_u32 v158, vcc_lo, v4, v102
	s_wait_alu depctr_va_vcc(0)
	v_add_co_ci_u32_e64 v159, null, v12, v103, vcc_lo
	;; [unrolled: 3-line block ×9, first 2 shown]
	v_add_co_u32 v180, vcc_lo, v4, v21
	.loc	1 205 22                        ; attention_bwd.py:205:22
	s_clause 0x2
	global_store_b16 v[13:14], v184, off
	global_store_b16 v[55:56], v185, off
	;; [unrolled: 1-line block ×3, first 2 shown]
	.loc	1 204 50                        ; attention_bwd.py:204:50
	s_wait_alu depctr_va_vcc(0)
	v_add_co_ci_u32_e64 v181, null, v12, v22, vcc_lo
	v_add_co_u32 v186, vcc_lo, v4, v17
	.loc	1 205 22                        ; attention_bwd.py:205:22
	global_store_b16 v[53:54], v187, off
	.loc	1 204 50                        ; attention_bwd.py:204:50
	s_wait_alu depctr_va_vcc(0)
	v_add_co_ci_u32_e64 v187, null, v12, v18, vcc_lo
	v_add_co_u32 v60, vcc_lo, v4, v2
	s_wait_alu depctr_va_vcc(0)
	v_add_co_ci_u32_e64 v61, null, v12, v3, vcc_lo
	v_add_co_u32 v62, vcc_lo, v4, v0
	;; [unrolled: 3-line block ×3, first 2 shown]
	.loc	1 153 10                        ; attention_bwd.py:153:10
	s_add_nc_u64 s[0:1], s[14:15], s[8:9]
	.loc	1 205 22                        ; attention_bwd.py:205:22
	s_clause 0x2
	global_store_b16 v[57:58], v188, off
	global_store_b16 v[5:6], v189, off
	;; [unrolled: 1-line block ×3, first 2 shown]
	.loc	1 204 50                        ; attention_bwd.py:204:50
	s_wait_alu depctr_va_vcc(0)
	v_add_co_ci_u32_e64 v55, null, v12, v8, vcc_lo
	.loc	1 209 19                        ; attention_bwd.py:209:19
	s_wait_alu depctr_sa_sdst(0)
	v_add_co_u32 v168, vcc_lo, s0, v235
	.loc	1 205 22                        ; attention_bwd.py:205:22
	global_store_b16 v[23:24], v169, off
	.loc	1 209 19                        ; attention_bwd.py:209:19
	s_wait_alu depctr_va_vcc(0)
	v_add_co_ci_u32_e64 v169, null, s1, v236, vcc_lo
	.loc	1 205 22                        ; attention_bwd.py:205:22
	global_store_b16 v[68:69], v170, off
	.loc	1 209 50                        ; attention_bwd.py:209:50
	v_add_co_u32 v68, vcc_lo, v168, v207
	s_wait_alu depctr_va_vcc(0)
	v_add_co_ci_u32_e64 v69, null, v169, v208, vcc_lo
	v_add_co_u32 v58, vcc_lo, v168, v209
	s_wait_alu depctr_va_vcc(0)
	v_add_co_ci_u32_e64 v59, null, v169, v210, vcc_lo
	v_add_co_u32 v170, vcc_lo, v168, v211
	.loc	1 205 22                        ; attention_bwd.py:205:22
	global_store_b16 v[25:26], v171, off
	.loc	1 209 50                        ; attention_bwd.py:209:50
	s_wait_alu depctr_va_vcc(0)
	v_add_co_ci_u32_e64 v171, null, v169, v212, vcc_lo
	v_add_co_u32 v48, vcc_lo, v168, v213
	s_wait_alu depctr_va_vcc(0)
	v_add_co_ci_u32_e64 v49, null, v169, v214, vcc_lo
	v_add_co_u32 v56, vcc_lo, v168, v215
	;; [unrolled: 3-line block ×5, first 2 shown]
	.loc	1 205 22                        ; attention_bwd.py:205:22
	s_clause 0x2
	global_store_b16 v[29:30], v172, off
	global_store_b16 v[134:135], v173, off
	;; [unrolled: 1-line block ×3, first 2 shown]
	.loc	1 209 50                        ; attention_bwd.py:209:50
	s_wait_alu depctr_va_vcc(0)
	v_add_co_ci_u32_e64 v25, null, v169, v222, vcc_lo
	v_add_co_u32 v11, vcc_lo, v168, v94
	s_wait_alu depctr_va_vcc(0)
	v_add_co_ci_u32_e64 v12, null, v169, v95, vcc_lo
	v_add_co_u32 v13, vcc_lo, v168, v80
	;; [unrolled: 3-line block ×7, first 2 shown]
	.loc	1 205 22                        ; attention_bwd.py:205:22
	global_store_b16 v[33:34], v79, off
	.loc	1 209 50                        ; attention_bwd.py:209:50
	s_wait_alu depctr_va_vcc(0)
	v_add_co_ci_u32_e64 v179, null, v169, v191, vcc_lo
	v_add_co_u32 v33, vcc_lo, v168, v174
	s_wait_alu depctr_va_vcc(0)
	v_add_co_ci_u32_e64 v34, null, v169, v175, vcc_lo
	v_add_co_u32 v29, vcc_lo, v168, v241
	;; [unrolled: 3-line block ×4, first 2 shown]
	s_clause 0x3                            ; 32-byte Folded Spill
	scratch_store_b64 off, v[235:236], off offset:1012
	scratch_store_b64 off, v[237:238], off offset:1020
	;; [unrolled: 1-line block ×4, first 2 shown]
	s_wait_alu depctr_va_vcc(0)
	v_add_co_ci_u32_e64 v189, null, v169, v246, vcc_lo
	v_add_co_u32 v235, vcc_lo, v168, v102
	.loc	1 205 22                        ; attention_bwd.py:205:22
	s_clause 0x5
	global_store_b16 v[142:143], v96, off
	global_store_b16 v[144:145], v233, off
	;; [unrolled: 1-line block ×6, first 2 shown]
	.loc	1 209 50                        ; attention_bwd.py:209:50
	s_wait_alu depctr_va_vcc(0)
	v_add_co_ci_u32_e64 v236, null, v169, v103, vcc_lo
	v_add_co_u32 v44, vcc_lo, v168, v125
	.loc	1 205 22                        ; attention_bwd.py:205:22
	global_store_b16 v[150:151], v46, off
	.loc	1 209 50                        ; attention_bwd.py:209:50
	s_wait_alu depctr_va_vcc(0)
	v_add_co_ci_u32_e64 v45, null, v169, v126, vcc_lo
	v_add_co_u32 v46, vcc_lo, v168, v31
	.loc	1 205 22                        ; attention_bwd.py:205:22
	s_clause 0x1
	global_store_b16 v[152:153], v50, off
	global_store_b16 v[154:155], v78, off
	.loc	1 209 50                        ; attention_bwd.py:209:50
	s_wait_alu depctr_va_vcc(0)
	v_add_co_ci_u32_e64 v47, null, v169, v32, vcc_lo
	v_add_co_u32 v78, vcc_lo, v168, v37
	s_wait_alu depctr_va_vcc(0)
	v_add_co_ci_u32_e64 v79, null, v169, v38, vcc_lo
	v_add_co_u32 v39, vcc_lo, v168, v65
	;; [unrolled: 3-line block ×3, first 2 shown]
	.loc	1 205 22                        ; attention_bwd.py:205:22
	s_clause 0x1
	global_store_b16 v[156:157], v230, off
	global_store_b16 v[51:52], v82, off
	.loc	1 209 50                        ; attention_bwd.py:209:50
	s_wait_alu depctr_va_vcc(0)
	v_add_co_ci_u32_e64 v36, null, v169, v28, vcc_lo
	v_add_co_u32 v52, vcc_lo, v168, v70
	s_wait_alu depctr_va_vcc(0)
	v_add_co_ci_u32_e64 v53, null, v169, v71, vcc_lo
	v_add_co_u32 v50, vcc_lo, v168, v9
	s_wait_alu depctr_va_vcc(0)
	v_add_co_ci_u32_e64 v51, null, v169, v10, vcc_lo
	v_add_co_u32 v231, vcc_lo, v168, v21
	s_wait_alu depctr_va_vcc(0)
	v_add_co_ci_u32_e64 v232, null, v169, v22, vcc_lo
	v_add_co_u32 v82, vcc_lo, v168, v17
	.loc	1 205 22                        ; attention_bwd.py:205:22
	s_clause 0x2
	global_store_b16 v[158:159], v229, off
	global_store_b16 v[160:161], v228, off
	;; [unrolled: 1-line block ×3, first 2 shown]
	.loc	1 209 50                        ; attention_bwd.py:209:50
	s_wait_alu depctr_va_vcc(0)
	v_add_co_ci_u32_e64 v83, null, v169, v18, vcc_lo
	v_add_co_u32 v227, vcc_lo, v168, v2
	s_wait_alu depctr_va_vcc(0)
	v_add_co_ci_u32_e64 v228, null, v169, v3, vcc_lo
	v_add_co_u32 v229, vcc_lo, v168, v0
	;; [unrolled: 3-line block ×3, first 2 shown]
	s_wait_alu depctr_va_vcc(0)
	v_add_co_ci_u32_e64 v133, null, v169, v8, vcc_lo
	.loc	1 209 19 is_stmt 0              ; attention_bwd.py:209:19
	v_add_co_u32 v172, vcc_lo, s0, v86
	s_wait_alu depctr_va_vcc(0)
	v_add_co_ci_u32_e64 v173, null, s1, v87, vcc_lo
	.loc	1 205 22 is_stmt 1              ; attention_bwd.py:205:22
	s_clause 0x1
	global_store_b16 v[164:165], v90, off
	global_store_b16 v[76:77], v139, off
	.loc	1 209 50                        ; attention_bwd.py:209:50
	v_add_co_u32 v76, vcc_lo, v172, v207
	s_wait_alu depctr_va_vcc(0)
	v_add_co_ci_u32_e64 v77, null, v173, v208, vcc_lo
	v_add_co_u32 v134, vcc_lo, v172, v209
	.loc	1 205 22                        ; attention_bwd.py:205:22
	global_store_b16 v[166:167], v138, off
	.loc	1 209 50                        ; attention_bwd.py:209:50
	s_wait_alu depctr_va_vcc(0)
	v_add_co_ci_u32_e64 v135, null, v173, v210, vcc_lo
	.loc	1 205 22                        ; attention_bwd.py:205:22
	global_store_b16 v[72:73], v137, off
	.loc	1 209 50                        ; attention_bwd.py:209:50
	v_add_co_u32 v72, vcc_lo, v172, v211
	s_wait_alu depctr_va_vcc(0)
	v_add_co_ci_u32_e64 v73, null, v173, v212, vcc_lo
	.loc	1 205 22                        ; attention_bwd.py:205:22
	global_store_b16 v[74:75], v136, off
	.loc	1 209 50                        ; attention_bwd.py:209:50
	v_add_co_u32 v136, vcc_lo, v172, v213
	s_wait_alu depctr_va_vcc(0)
	v_add_co_ci_u32_e64 v137, null, v173, v214, vcc_lo
	v_add_co_u32 v138, vcc_lo, v172, v215
	s_wait_alu depctr_va_vcc(0)
	v_add_co_ci_u32_e64 v139, null, v173, v216, vcc_lo
	v_add_co_u32 v140, vcc_lo, v172, v217
	.loc	1 205 22                        ; attention_bwd.py:205:22
	global_store_b16 v[180:181], v131, off
	.loc	1 209 50                        ; attention_bwd.py:209:50
	s_wait_alu depctr_va_vcc(0)
	v_add_co_ci_u32_e64 v141, null, v173, v218, vcc_lo
	.loc	1 205 22                        ; attention_bwd.py:205:22
	global_store_b16 v[186:187], v130, off
	.loc	1 209 50                        ; attention_bwd.py:209:50
	v_add_co_u32 v130, vcc_lo, v172, v219
	s_wait_alu depctr_va_vcc(0)
	v_add_co_ci_u32_e64 v131, null, v173, v220, vcc_lo
	v_add_co_u32 v142, vcc_lo, v172, v221
	s_wait_alu depctr_va_vcc(0)
	v_add_co_ci_u32_e64 v143, null, v173, v222, vcc_lo
	v_add_co_u32 v144, vcc_lo, v172, v94
	.loc	1 205 22                        ; attention_bwd.py:205:22
	global_store_b16 v[60:61], v129, off
	.loc	1 209 50                        ; attention_bwd.py:209:50
	s_wait_alu depctr_va_vcc(0)
	v_add_co_ci_u32_e64 v145, null, v173, v95, vcc_lo
	.loc	1 205 22                        ; attention_bwd.py:205:22
	global_store_b16 v[62:63], v128, off
	.loc	1 209 50                        ; attention_bwd.py:209:50
	v_add_co_u32 v128, vcc_lo, v172, v80
	s_wait_alu depctr_va_vcc(0)
	v_add_co_ci_u32_e64 v129, null, v173, v81, vcc_lo
	v_add_co_u32 v146, vcc_lo, v172, v88
	s_wait_alu depctr_va_vcc(0)
	v_add_co_ci_u32_e64 v147, null, v173, v89, vcc_lo
	;; [unrolled: 3-line block ×12, first 2 shown]
	v_add_co_u32 v168, vcc_lo, v172, v31
	.loc	1 205 22                        ; attention_bwd.py:205:22
	global_store_b16 v[54:55], v109, off
	.loc	1 210 22                        ; attention_bwd.py:210:22
	s_clause 0x2
	global_store_b16 v[68:69], v91, off
	global_store_b16 v[58:59], v117, off
	;; [unrolled: 1-line block ×3, first 2 shown]
	.loc	1 209 50                        ; attention_bwd.py:209:50
	s_wait_alu depctr_va_vcc(0)
	v_add_co_ci_u32_e64 v169, null, v173, v32, vcc_lo
	v_add_co_u32 v170, vcc_lo, v172, v37
	s_wait_alu depctr_va_vcc(0)
	v_add_co_ci_u32_e64 v171, null, v173, v38, vcc_lo
	v_add_co_u32 v74, vcc_lo, v172, v65
	s_clause 0x3                            ; 32-byte Folded Spill
	scratch_store_b64 off, v[94:95], off offset:980
	scratch_store_b64 off, v[80:81], off offset:988
	;; [unrolled: 1-line block ×4, first 2 shown]
	s_wait_alu depctr_va_vcc(0)
	v_add_co_ci_u32_e64 v75, null, v173, v66, vcc_lo
	v_add_co_u32 v80, vcc_lo, v172, v27
	s_clause 0x3                            ; 32-byte Folded Spill
	scratch_store_b64 off, v[102:103], off offset:1076
	scratch_store_b64 off, v[125:126], off offset:1084
	;; [unrolled: 1-line block ×4, first 2 shown]
	s_wait_alu depctr_va_vcc(0)
	v_add_co_ci_u32_e64 v81, null, v173, v28, vcc_lo
	v_add_co_u32 v102, vcc_lo, v172, v70
	s_wait_alu depctr_va_vcc(0)
	v_add_co_ci_u32_e64 v103, null, v173, v71, vcc_lo
	v_add_co_u32 v96, vcc_lo, v172, v9
	s_clause 0x1                            ; 16-byte Folded Spill
	scratch_store_b64 off, v[86:87], off offset:1236
	scratch_store_b64 off, v[0:1], off offset:1220
	.loc	1 210 22                        ; attention_bwd.py:210:22
	s_clause 0x4
	global_store_b16 v[48:49], v92, off
	global_store_b16 v[56:57], v116, off
	;; [unrolled: 1-line block ×5, first 2 shown]
	s_clause 0x3                            ; 32-byte Folded Spill
	scratch_store_b64 off, v[65:66], off offset:1108
	scratch_store_b64 off, v[27:28], off offset:1116
	;; [unrolled: 1-line block ×4, first 2 shown]
	s_clause 0x1
	global_store_b16 v[11:12], v123, off
	global_store_b16 v[13:14], v249, off
	.loc	1 209 50                        ; attention_bwd.py:209:50
	s_wait_alu depctr_va_vcc(0)
	v_add_co_ci_u32_e64 v97, null, v173, v10, vcc_lo
	.loc	1 210 22                        ; attention_bwd.py:210:22
	global_store_b16 v[15:16], v248, off
	.loc	1 209 50                        ; attention_bwd.py:209:50
	v_add_co_u32 v86, vcc_lo, v172, v21
	.loc	1 210 22                        ; attention_bwd.py:210:22
	global_store_b16 v[19:20], v114, off
	scratch_load_b64 v[20:21], off, off offset:1416 th:TH_LOAD_LU ; 8-byte Folded Reload
	.loc	1 209 50                        ; attention_bwd.py:209:50
	s_wait_alu depctr_va_vcc(0)
	v_add_co_ci_u32_e64 v87, null, v173, v22, vcc_lo
	v_add_co_u32 v90, vcc_lo, v172, v17
	.loc	1 220 20                        ; attention_bwd.py:220:20
	v_readlane_b32 s0, v251, 21
	v_readlane_b32 s1, v251, 22
	.loc	1 209 50                        ; attention_bwd.py:209:50
	s_wait_alu depctr_va_vcc(0)
	v_add_co_ci_u32_e64 v91, null, v173, v18, vcc_lo
	v_add_co_u32 v92, vcc_lo, v172, v2
	s_wait_alu depctr_va_vcc(0)
	v_add_co_ci_u32_e64 v93, null, v173, v3, vcc_lo
	v_add_co_u32 v98, vcc_lo, v172, v0
	;; [unrolled: 3-line block ×3, first 2 shown]
	.loc	1 220 20                        ; attention_bwd.py:220:20
	s_add_nc_u64 s[0:1], s[92:93], s[0:1]
	.loc	1 209 50                        ; attention_bwd.py:209:50
	s_wait_alu depctr_va_vcc(0)
	v_add_co_ci_u32_e64 v109, null, v173, v8, vcc_lo
	s_clause 0xf                            ; 128-byte Folded Spill
	scratch_store_b64 off, v[207:208], off offset:916
	scratch_store_b64 off, v[209:210], off offset:924
	;; [unrolled: 1-line block ×16, first 2 shown]
	.loc	1 210 22                        ; attention_bwd.py:210:22
	global_store_b16 v[184:185], v112, off
	v_readlane_b32 s34, v253, 11
	v_readlane_b32 s35, v253, 12
	;; [unrolled: 1-line block ×12, first 2 shown]
	.loc	1 220 51                        ; attention_bwd.py:220:51
	s_wait_loadcnt 0x0
	s_wait_alu depctr_sa_sdst(0)
	v_add_co_u32 v0, vcc_lo, s0, v20
	s_wait_alu depctr_va_vcc(0)
	v_add_co_ci_u32_e64 v1, null, s1, v21, vcc_lo
	.loc	1 220 20 is_stmt 0              ; attention_bwd.py:220:20
	v_readlane_b32 s0, v251, 23
	v_readlane_b32 s1, v251, 24
	scratch_store_b64 off, v[0:1], off offset:636 ; 8-byte Folded Spill
	.loc	1 210 22 is_stmt 1              ; attention_bwd.py:210:22
	global_store_b16 v[176:177], v206, off
	.loc	1 220 20                        ; attention_bwd.py:220:20
	s_add_nc_u64 s[0:1], s[92:93], s[0:1]
	.loc	1 220 51 is_stmt 0              ; attention_bwd.py:220:51
	s_wait_alu depctr_sa_sdst(0)
	v_add_co_u32 v0, vcc_lo, s0, v20
	s_wait_alu depctr_va_vcc(0)
	v_add_co_ci_u32_e64 v1, null, s1, v21, vcc_lo
	.loc	1 220 20                        ; attention_bwd.py:220:20
	v_readlane_b32 s0, v250, 11
	v_readlane_b32 s1, v250, 12
	scratch_store_b64 off, v[0:1], off offset:628 ; 8-byte Folded Spill
	.loc	1 210 22 is_stmt 1              ; attention_bwd.py:210:22
	global_store_b16 v[178:179], v205, off
	.loc	1 220 20                        ; attention_bwd.py:220:20
	s_add_nc_u64 s[0:1], s[92:93], s[0:1]
	.loc	1 220 51 is_stmt 0              ; attention_bwd.py:220:51
	s_wait_alu depctr_sa_sdst(0)
	v_add_co_u32 v0, vcc_lo, s0, v20
	s_wait_alu depctr_va_vcc(0)
	v_add_co_ci_u32_e64 v1, null, s1, v21, vcc_lo
	.loc	1 220 20                        ; attention_bwd.py:220:20
	v_readlane_b32 s0, v250, 13
	v_readlane_b32 s1, v250, 14
	scratch_store_b64 off, v[0:1], off offset:620 ; 8-byte Folded Spill
	s_add_nc_u64 s[0:1], s[92:93], s[0:1]
	.loc	1 220 51                        ; attention_bwd.py:220:51
	s_wait_alu depctr_sa_sdst(0)
	v_add_co_u32 v0, vcc_lo, s0, v20
	s_wait_alu depctr_va_vcc(0)
	v_add_co_ci_u32_e64 v1, null, s1, v21, vcc_lo
	.loc	1 220 20                        ; attention_bwd.py:220:20
	v_readlane_b32 s0, v250, 15
	v_readlane_b32 s1, v250, 16
	scratch_store_b64 off, v[0:1], off offset:612 ; 8-byte Folded Spill
	.loc	1 210 22 is_stmt 1              ; attention_bwd.py:210:22
	s_clause 0x1
	global_store_b16 v[33:34], v204, off
	global_store_b16 v[29:30], v203, off
	.loc	1 220 20                        ; attention_bwd.py:220:20
	s_add_nc_u64 s[0:1], s[92:93], s[0:1]
	.loc	1 220 51 is_stmt 0              ; attention_bwd.py:220:51
	s_wait_alu depctr_sa_sdst(0)
	v_add_co_u32 v11, vcc_lo, s0, v20
	s_wait_alu depctr_va_vcc(0)
	v_add_co_ci_u32_e64 v12, null, s1, v21, vcc_lo
	.loc	1 220 20                        ; attention_bwd.py:220:20
	v_readlane_b32 s0, v251, 25
	v_readlane_b32 s1, v251, 26
	s_add_nc_u64 s[0:1], s[92:93], s[0:1]
	.loc	1 220 51                        ; attention_bwd.py:220:51
	s_wait_alu depctr_sa_sdst(0)
	v_add_co_u32 v16, vcc_lo, s0, v20
	s_wait_alu depctr_va_vcc(0)
	v_add_co_ci_u32_e64 v17, null, s1, v21, vcc_lo
	.loc	1 220 20                        ; attention_bwd.py:220:20
	v_readlane_b32 s0, v250, 17
	v_readlane_b32 s1, v250, 18
	s_add_nc_u64 s[0:1], s[92:93], s[0:1]
	.loc	1 220 51                        ; attention_bwd.py:220:51
	s_wait_alu depctr_sa_sdst(0)
	v_add_co_u32 v0, vcc_lo, s0, v20
	s_wait_alu depctr_va_vcc(0)
	v_add_co_ci_u32_e64 v1, null, s1, v21, vcc_lo
	.loc	1 220 20                        ; attention_bwd.py:220:20
	v_readlane_b32 s0, v251, 27
	v_readlane_b32 s1, v251, 28
	scratch_store_b64 off, v[0:1], off offset:652 ; 8-byte Folded Spill
	.loc	1 210 22 is_stmt 1              ; attention_bwd.py:210:22
	s_clause 0x2
	global_store_b16 v[182:183], v198, off
	global_store_b16 v[188:189], v197, off
	;; [unrolled: 1-line block ×3, first 2 shown]
	.loc	1 220 20                        ; attention_bwd.py:220:20
	s_add_nc_u64 s[0:1], s[92:93], s[0:1]
	.loc	1 220 51 is_stmt 0              ; attention_bwd.py:220:51
	s_wait_alu depctr_sa_sdst(0)
	v_add_co_u32 v29, vcc_lo, s0, v20
	s_wait_alu depctr_va_vcc(0)
	v_add_co_ci_u32_e64 v30, null, s1, v21, vcc_lo
	.loc	1 220 20                        ; attention_bwd.py:220:20
	s_add_nc_u64 s[0:1], s[92:93], s[22:23]
	v_readlane_b32 s22, v252, 9
	.loc	1 220 51                        ; attention_bwd.py:220:51
	s_wait_alu depctr_sa_sdst(0)
	v_add_co_u32 v0, vcc_lo, s0, v20
	s_wait_alu depctr_va_vcc(0)
	v_add_co_ci_u32_e64 v1, null, s1, v21, vcc_lo
	.loc	1 220 20                        ; attention_bwd.py:220:20
	v_readlane_b32 s0, v250, 19
	v_readlane_b32 s1, v250, 20
	;; [unrolled: 1-line block ×3, first 2 shown]
	scratch_store_b64 off, v[0:1], off offset:644 ; 8-byte Folded Spill
	s_add_nc_u64 s[0:1], s[92:93], s[0:1]
	.loc	1 220 51                        ; attention_bwd.py:220:51
	s_wait_alu depctr_sa_sdst(0)
	v_add_co_u32 v14, vcc_lo, s0, v20
	s_wait_alu depctr_va_vcc(0)
	v_add_co_ci_u32_e64 v15, null, s1, v21, vcc_lo
	.loc	1 220 20                        ; attention_bwd.py:220:20
	v_readlane_b32 s0, v250, 21
	v_readlane_b32 s1, v250, 22
	s_add_nc_u64 s[0:1], s[92:93], s[0:1]
	.loc	1 220 51                        ; attention_bwd.py:220:51
	s_wait_alu depctr_sa_sdst(0)
	v_add_co_u32 v0, vcc_lo, s0, v20
	s_wait_alu depctr_va_vcc(0)
	v_add_co_ci_u32_e64 v1, null, s1, v21, vcc_lo
	.loc	1 220 20                        ; attention_bwd.py:220:20
	v_readlane_b32 s0, v251, 29
	v_readlane_b32 s1, v251, 30
	scratch_store_b64 off, v[0:1], off offset:660 ; 8-byte Folded Spill
	.loc	1 210 22 is_stmt 1              ; attention_bwd.py:210:22
	global_store_b16 v[44:45], v199, off
	.loc	1 220 20                        ; attention_bwd.py:220:20
	s_add_nc_u64 s[0:1], s[92:93], s[0:1]
	.loc	1 220 51 is_stmt 0              ; attention_bwd.py:220:51
	s_wait_alu depctr_sa_sdst(0)
	v_add_co_u32 v0, vcc_lo, s0, v20
	s_wait_alu depctr_va_vcc(0)
	v_add_co_ci_u32_e64 v1, null, s1, v21, vcc_lo
	.loc	1 220 20                        ; attention_bwd.py:220:20
	v_readlane_b32 s0, v251, 31
	v_readlane_b32 s1, v253, 0
	scratch_store_b64 off, v[0:1], off offset:668 ; 8-byte Folded Spill
	.loc	1 210 22 is_stmt 1              ; attention_bwd.py:210:22
	scratch_load_b32 v0, off, off offset:608 th:TH_LOAD_LU ; 4-byte Folded Reload
	.loc	1 220 20                        ; attention_bwd.py:220:20
	s_add_nc_u64 s[0:1], s[92:93], s[0:1]
	.loc	1 220 51 is_stmt 0              ; attention_bwd.py:220:51
	s_wait_alu depctr_sa_sdst(0)
	v_add_co_u32 v27, vcc_lo, s0, v20
	s_wait_alu depctr_va_vcc(0)
	v_add_co_ci_u32_e64 v28, null, s1, v21, vcc_lo
	.loc	1 220 20                        ; attention_bwd.py:220:20
	v_readlane_b32 s0, v253, 1
	v_readlane_b32 s1, v253, 2
	s_add_nc_u64 s[0:1], s[92:93], s[0:1]
	.loc	1 220 51                        ; attention_bwd.py:220:51
	s_wait_alu depctr_sa_sdst(0)
	v_add_co_u32 v18, vcc_lo, s0, v20
	s_wait_alu depctr_va_vcc(0)
	v_add_co_ci_u32_e64 v19, null, s1, v21, vcc_lo
	.loc	1 220 20                        ; attention_bwd.py:220:20
	v_readlane_b32 s0, v253, 3
	v_readlane_b32 s1, v253, 4
	s_add_nc_u64 s[0:1], s[92:93], s[0:1]
	.loc	1 220 51                        ; attention_bwd.py:220:51
	;; [unrolled: 9-line block ×3, first 2 shown]
	s_wait_alu depctr_sa_sdst(0)
	v_add_co_u32 v25, vcc_lo, s0, v20
	s_wait_alu depctr_va_vcc(0)
	v_add_co_ci_u32_e64 v26, null, s1, v21, vcc_lo
	.loc	1 220 20                        ; attention_bwd.py:220:20
	s_add_nc_u64 s[0:1], s[92:93], s[102:103]
	.loc	1 220 51                        ; attention_bwd.py:220:51
	s_wait_alu depctr_sa_sdst(0)
	v_add_co_u32 v32, vcc_lo, s0, v20
	s_wait_alu depctr_va_vcc(0)
	v_add_co_ci_u32_e64 v33, null, s1, v21, vcc_lo
	.loc	1 220 20                        ; attention_bwd.py:220:20
	s_add_nc_u64 s[0:1], s[92:93], s[98:99]
	.loc	1 220 51                        ; attention_bwd.py:220:51
	s_wait_alu depctr_sa_sdst(0)
	v_add_co_u32 v34, vcc_lo, s0, v20
	.loc	1 210 22 is_stmt 1              ; attention_bwd.py:210:22
	s_wait_loadcnt 0x0
	global_store_b16 v[46:47], v0, off
	scratch_load_b32 v0, off, off offset:604 th:TH_LOAD_LU ; 4-byte Folded Reload
	s_wait_loadcnt 0x0
	global_store_b16 v[78:79], v0, off
	scratch_load_b32 v0, off, off offset:600 th:TH_LOAD_LU ; 4-byte Folded Reload
	;; [unrolled: 3-line block ×4, first 2 shown]
	.loc	1 220 51                        ; attention_bwd.py:220:51
	s_wait_alu depctr_va_vcc(0)
	v_add_co_ci_u32_e64 v35, null, s1, v21, vcc_lo
	.loc	1 220 20 is_stmt 0              ; attention_bwd.py:220:20
	s_add_nc_u64 s[0:1], s[92:93], s[34:35]
	.loc	1 220 51                        ; attention_bwd.py:220:51
	s_wait_alu depctr_sa_sdst(0)
	v_add_co_u32 v36, vcc_lo, s0, v20
	s_wait_alu depctr_va_vcc(0)
	v_add_co_ci_u32_e64 v37, null, s1, v21, vcc_lo
	.loc	1 220 20                        ; attention_bwd.py:220:20
	s_add_nc_u64 s[0:1], s[92:93], s[94:95]
	.loc	1 220 51                        ; attention_bwd.py:220:51
	s_wait_alu depctr_sa_sdst(0)
	v_add_co_u32 v38, vcc_lo, s0, v20
	s_wait_alu depctr_va_vcc(0)
	v_add_co_ci_u32_e64 v39, null, s1, v21, vcc_lo
	.loc	1 220 20                        ; attention_bwd.py:220:20
	;; [unrolled: 7-line block ×3, first 2 shown]
	v_readlane_b32 s0, v253, 17
	v_readlane_b32 s1, v253, 18
	s_add_nc_u64 s[0:1], s[92:93], s[0:1]
	.loc	1 220 51                        ; attention_bwd.py:220:51
	s_wait_alu depctr_sa_sdst(0)
	v_add_co_u32 v42, vcc_lo, s0, v20
	s_wait_alu depctr_va_vcc(0)
	v_add_co_ci_u32_e64 v43, null, s1, v21, vcc_lo
	.loc	1 220 20                        ; attention_bwd.py:220:20
	s_add_nc_u64 s[0:1], s[92:93], s[96:97]
	.loc	1 220 51                        ; attention_bwd.py:220:51
	s_wait_alu depctr_sa_sdst(0)
	v_add_co_u32 v44, vcc_lo, s0, v20
	s_wait_alu depctr_va_vcc(0)
	v_add_co_ci_u32_e64 v45, null, s1, v21, vcc_lo
	.loc	1 220 20                        ; attention_bwd.py:220:20
	s_add_nc_u64 s[0:1], s[92:93], s[30:31]
	.loc	1 222 22 is_stmt 1              ; attention_bwd.py:222:22
	s_add_nc_u64 s[30:31], s[2:3], s[30:31]
	.loc	1 220 51                        ; attention_bwd.py:220:51
	s_wait_alu depctr_sa_sdst(0)
	v_add_co_u32 v46, vcc_lo, s0, v20
	s_wait_alu depctr_va_vcc(0)
	v_add_co_ci_u32_e64 v47, null, s1, v21, vcc_lo
	.loc	1 220 20 is_stmt 0              ; attention_bwd.py:220:20
	s_add_nc_u64 s[0:1], s[92:93], s[28:29]
	.loc	1 222 22 is_stmt 1              ; attention_bwd.py:222:22
	s_add_nc_u64 s[28:29], s[2:3], s[28:29]
	.loc	1 220 51                        ; attention_bwd.py:220:51
	s_wait_alu depctr_sa_sdst(0)
	v_add_co_u32 v48, vcc_lo, s0, v20
	s_wait_alu depctr_va_vcc(0)
	v_add_co_ci_u32_e64 v49, null, s1, v21, vcc_lo
	.loc	1 220 20 is_stmt 0              ; attention_bwd.py:220:20
	s_add_nc_u64 s[0:1], s[92:93], s[26:27]
	.loc	1 222 22 is_stmt 1              ; attention_bwd.py:222:22
	s_add_nc_u64 s[26:27], s[2:3], s[26:27]
	.loc	1 210 22                        ; attention_bwd.py:210:22
	s_wait_loadcnt 0x0
	global_store_b16 v[52:53], v0, off
	scratch_load_b32 v0, off, off offset:588 th:TH_LOAD_LU ; 4-byte Folded Reload
	s_wait_loadcnt 0x0
	global_store_b16 v[50:51], v0, off
	scratch_load_b32 v0, off, off offset:584 th:TH_LOAD_LU ; 4-byte Folded Reload
	global_store_b16 v[231:232], v193, off
	.loc	1 220 51                        ; attention_bwd.py:220:51
	s_wait_alu depctr_sa_sdst(0)
	v_add_co_u32 v50, vcc_lo, s0, v20
	s_wait_alu depctr_va_vcc(0)
	v_add_co_ci_u32_e64 v51, null, s1, v21, vcc_lo
	.loc	1 220 20 is_stmt 0              ; attention_bwd.py:220:20
	s_add_nc_u64 s[0:1], s[92:93], s[90:91]
	.loc	1 220 51                        ; attention_bwd.py:220:51
	s_wait_alu depctr_sa_sdst(0)
	v_add_co_u32 v52, vcc_lo, s0, v20
	s_wait_alu depctr_va_vcc(0)
	v_add_co_ci_u32_e64 v53, null, s1, v21, vcc_lo
	.loc	1 220 20                        ; attention_bwd.py:220:20
	s_add_nc_u64 s[0:1], s[92:93], s[88:89]
	.loc	1 220 51                        ; attention_bwd.py:220:51
	s_wait_alu depctr_sa_sdst(0)
	v_add_co_u32 v54, vcc_lo, s0, v20
	s_wait_alu depctr_va_vcc(0)
	v_add_co_ci_u32_e64 v55, null, s1, v21, vcc_lo
	.loc	1 220 20                        ; attention_bwd.py:220:20
	s_add_nc_u64 s[0:1], s[92:93], s[86:87]
	.loc	1 220 51                        ; attention_bwd.py:220:51
	s_wait_alu depctr_sa_sdst(0)
	v_add_co_u32 v56, vcc_lo, s0, v20
	s_wait_alu depctr_va_vcc(0)
	v_add_co_ci_u32_e64 v57, null, s1, v21, vcc_lo
	.loc	1 220 20                        ; attention_bwd.py:220:20
	s_add_nc_u64 s[0:1], s[92:93], s[84:85]
	.loc	1 220 51                        ; attention_bwd.py:220:51
	s_wait_alu depctr_sa_sdst(0)
	v_add_co_u32 v58, vcc_lo, s0, v20
	s_wait_alu depctr_va_vcc(0)
	v_add_co_ci_u32_e64 v59, null, s1, v21, vcc_lo
	.loc	1 220 20                        ; attention_bwd.py:220:20
	s_add_nc_u64 s[0:1], s[92:93], s[74:75]
	.loc	1 220 51                        ; attention_bwd.py:220:51
	s_wait_alu depctr_sa_sdst(0)
	v_add_co_u32 v60, vcc_lo, s0, v20
	s_wait_alu depctr_va_vcc(0)
	v_add_co_ci_u32_e64 v61, null, s1, v21, vcc_lo
	.loc	1 220 20                        ; attention_bwd.py:220:20
	s_add_nc_u64 s[0:1], s[92:93], s[72:73]
	.loc	1 220 51                        ; attention_bwd.py:220:51
	s_wait_alu depctr_sa_sdst(0)
	v_add_co_u32 v62, vcc_lo, s0, v20
	s_wait_alu depctr_va_vcc(0)
	v_add_co_ci_u32_e64 v63, null, s1, v21, vcc_lo
	.loc	1 220 20                        ; attention_bwd.py:220:20
	s_add_nc_u64 s[0:1], s[92:93], s[70:71]
	.loc	1 220 51                        ; attention_bwd.py:220:51
	s_wait_alu depctr_sa_sdst(0)
	v_add_co_u32 v64, vcc_lo, s0, v20
	s_wait_alu depctr_va_vcc(0)
	v_add_co_ci_u32_e64 v65, null, s1, v21, vcc_lo
	.loc	1 220 20                        ; attention_bwd.py:220:20
	s_add_nc_u64 s[0:1], s[92:93], s[36:37]
	.loc	1 220 51                        ; attention_bwd.py:220:51
	s_wait_alu depctr_sa_sdst(0)
	v_add_co_u32 v66, vcc_lo, s0, v20
	s_wait_alu depctr_va_vcc(0)
	v_add_co_ci_u32_e64 v67, null, s1, v21, vcc_lo
	.loc	1 220 20                        ; attention_bwd.py:220:20
	s_add_nc_u64 s[0:1], s[92:93], s[68:69]
	.loc	1 220 51                        ; attention_bwd.py:220:51
	s_wait_alu depctr_sa_sdst(0)
	v_add_co_u32 v68, vcc_lo, s0, v20
	s_wait_alu depctr_va_vcc(0)
	v_add_co_ci_u32_e64 v69, null, s1, v21, vcc_lo
	.loc	1 220 20                        ; attention_bwd.py:220:20
	s_add_nc_u64 s[0:1], s[92:93], s[76:77]
	.loc	1 210 22 is_stmt 1              ; attention_bwd.py:210:22
	s_wait_loadcnt 0x0
	global_store_b16 v[82:83], v0, off
	scratch_load_b32 v0, off, off offset:580 th:TH_LOAD_LU ; 4-byte Folded Reload
	s_clause 0x6
	global_store_b16 v[227:228], v224, off
	global_store_b16 v[229:230], v113, off
	;; [unrolled: 1-line block ×7, first 2 shown]
	.loc	1 220 51                        ; attention_bwd.py:220:51
	s_wait_alu depctr_sa_sdst(0)
	v_add_co_u32 v72, vcc_lo, s0, v20
	s_wait_alu depctr_va_vcc(0)
	v_add_co_ci_u32_e64 v73, null, s1, v21, vcc_lo
	.loc	1 220 20 is_stmt 0              ; attention_bwd.py:220:20
	s_add_nc_u64 s[0:1], s[92:93], s[78:79]
	.loc	1 220 51                        ; attention_bwd.py:220:51
	s_wait_alu depctr_sa_sdst(0)
	v_add_co_u32 v76, vcc_lo, s0, v20
	s_wait_alu depctr_va_vcc(0)
	v_add_co_ci_u32_e64 v77, null, s1, v21, vcc_lo
	.loc	1 220 20                        ; attention_bwd.py:220:20
	s_add_nc_u64 s[0:1], s[92:93], s[82:83]
	.loc	1 222 22 is_stmt 1              ; attention_bwd.py:222:22
	s_add_nc_u64 s[82:83], s[2:3], s[82:83]
	.loc	1 220 51                        ; attention_bwd.py:220:51
	s_wait_alu depctr_sa_sdst(0)
	v_add_co_u32 v78, vcc_lo, s0, v20
	s_wait_alu depctr_va_vcc(0)
	v_add_co_ci_u32_e64 v79, null, s1, v21, vcc_lo
	.loc	1 220 20 is_stmt 0              ; attention_bwd.py:220:20
	s_add_nc_u64 s[0:1], s[92:93], s[60:61]
	.loc	1 222 22 is_stmt 1              ; attention_bwd.py:222:22
	s_add_nc_u64 s[60:61], s[2:3], s[60:61]
	.loc	1 220 51                        ; attention_bwd.py:220:51
	s_wait_alu depctr_sa_sdst(0)
	v_add_co_u32 v82, vcc_lo, s0, v20
	s_wait_alu depctr_va_vcc(0)
	v_add_co_ci_u32_e64 v83, null, s1, v21, vcc_lo
	.loc	1 220 20 is_stmt 0              ; attention_bwd.py:220:20
	s_add_nc_u64 s[0:1], s[92:93], s[66:67]
	.loc	1 220 51                        ; attention_bwd.py:220:51
	s_wait_alu depctr_sa_sdst(0)
	v_add_co_u32 v84, vcc_lo, s0, v20
	s_wait_alu depctr_va_vcc(0)
	v_add_co_ci_u32_e64 v85, null, s1, v21, vcc_lo
	.loc	1 220 20                        ; attention_bwd.py:220:20
	s_add_nc_u64 s[0:1], s[92:93], s[64:65]
	.loc	1 220 51                        ; attention_bwd.py:220:51
	s_wait_alu depctr_sa_sdst(0)
	v_add_co_u32 v88, vcc_lo, s0, v20
	s_wait_alu depctr_va_vcc(0)
	v_add_co_ci_u32_e64 v89, null, s1, v21, vcc_lo
	.loc	1 220 20                        ; attention_bwd.py:220:20
	;; [unrolled: 7-line block ×7, first 2 shown]
	s_add_nc_u64 s[0:1], s[92:93], s[52:53]
	.loc	1 210 22 is_stmt 1              ; attention_bwd.py:210:22
	s_wait_loadcnt 0x0
	global_store_b16 v[138:139], v0, off
	scratch_load_b32 v0, off, off offset:576 th:TH_LOAD_LU ; 4-byte Folded Reload
	s_clause 0x7
	global_store_b16 v[140:141], v122, off
	global_store_b16 v[130:131], v124, off
	;; [unrolled: 1-line block ×8, first 2 shown]
	.loc	1 220 51                        ; attention_bwd.py:220:51
	s_wait_alu depctr_sa_sdst(0)
	v_add_co_u32 v122, vcc_lo, s0, v20
	s_wait_alu depctr_va_vcc(0)
	v_add_co_ci_u32_e64 v123, null, s1, v21, vcc_lo
	.loc	1 220 20 is_stmt 0              ; attention_bwd.py:220:20
	s_add_nc_u64 s[0:1], s[92:93], s[50:51]
	.loc	1 220 51                        ; attention_bwd.py:220:51
	s_wait_alu depctr_sa_sdst(0)
	v_add_co_u32 v130, vcc_lo, s0, v20
	s_wait_alu depctr_va_vcc(0)
	v_add_co_ci_u32_e64 v131, null, s1, v21, vcc_lo
	.loc	1 220 20                        ; attention_bwd.py:220:20
	s_add_nc_u64 s[0:1], s[92:93], s[48:49]
	.loc	1 220 51                        ; attention_bwd.py:220:51
	s_wait_alu depctr_sa_sdst(0)
	v_add_co_u32 v132, vcc_lo, s0, v20
	s_wait_alu depctr_va_vcc(0)
	v_add_co_ci_u32_e64 v133, null, s1, v21, vcc_lo
	.loc	1 220 20                        ; attention_bwd.py:220:20
	;; [unrolled: 7-line block ×14, first 2 shown]
	s_add_nc_u64 s[0:1], s[92:93], s[10:11]
	.loc	1 222 22 is_stmt 1              ; attention_bwd.py:222:22
	s_add_nc_u64 s[10:11], s[2:3], s[10:11]
	.loc	1 220 51                        ; attention_bwd.py:220:51
	s_wait_alu depctr_sa_sdst(0)
	v_add_co_u32 v232, vcc_lo, s0, v20
	s_wait_alu depctr_va_vcc(0)
	v_add_co_ci_u32_e64 v233, null, s1, v21, vcc_lo
	.loc	1 220 20 is_stmt 0              ; attention_bwd.py:220:20
	s_add_nc_u64 s[0:1], s[92:93], s[6:7]
	.loc	1 222 22 is_stmt 1              ; attention_bwd.py:222:22
	s_add_nc_u64 s[6:7], s[2:3], s[6:7]
	.loc	1 220 51                        ; attention_bwd.py:220:51
	s_wait_alu depctr_sa_sdst(0)
	v_add_co_u32 v70, vcc_lo, s0, v20
	s_wait_alu depctr_va_vcc(0)
	v_add_co_ci_u32_e64 v71, null, s1, v21, vcc_lo
	.loc	1 220 20 is_stmt 0              ; attention_bwd.py:220:20
	s_add_nc_u64 s[0:1], s[92:93], s[4:5]
	.loc	1 222 22 is_stmt 1              ; attention_bwd.py:222:22
	s_add_nc_u64 s[92:93], s[2:3], s[72:73]
	.loc	1 220 51                        ; attention_bwd.py:220:51
	s_wait_alu depctr_sa_sdst(0)
	v_add_co_u32 v236, vcc_lo, s0, v20
	s_wait_alu depctr_va_vcc(0)
	v_add_co_ci_u32_e64 v237, null, s1, v21, vcc_lo
	.loc	1 222 22                        ; attention_bwd.py:222:22
	v_readlane_b32 s0, v251, 21
	v_readlane_b32 s1, v251, 22
	s_add_nc_u64 s[72:73], s[2:3], s[58:59]
	s_add_nc_u64 s[58:59], s[2:3], s[44:45]
	;; [unrolled: 1-line block ×6, first 2 shown]
	.loc	1 222 53 is_stmt 0              ; attention_bwd.py:222:53
	s_wait_alu depctr_sa_sdst(0)
	v_add_co_u32 v134, vcc_lo, s0, v20
	s_wait_alu depctr_va_vcc(0)
	v_add_co_ci_u32_e64 v135, null, s1, v21, vcc_lo
	.loc	1 222 22                        ; attention_bwd.py:222:22
	v_readlane_b32 s0, v251, 23
	v_readlane_b32 s1, v251, 24
	s_add_nc_u64 s[0:1], s[2:3], s[0:1]
	.loc	1 210 22 is_stmt 1              ; attention_bwd.py:210:22
	s_wait_loadcnt 0x0
	global_store_b16 v[152:153], v0, off
	scratch_load_b32 v0, off, off offset:544 th:TH_LOAD_LU ; 4-byte Folded Reload
	s_wait_loadcnt 0x0
	global_store_b16 v[154:155], v0, off
	scratch_load_b32 v0, off, off offset:512 th:TH_LOAD_LU ; 4-byte Folded Reload
	;; [unrolled: 3-line block ×12, first 2 shown]
	.loc	1 222 53                        ; attention_bwd.py:222:53
	s_wait_alu depctr_sa_sdst(0)
	v_add_co_u32 v80, vcc_lo, s0, v20
	s_wait_alu depctr_va_vcc(0)
	v_add_co_ci_u32_e64 v81, null, s1, v21, vcc_lo
	.loc	1 222 22 is_stmt 0              ; attention_bwd.py:222:22
	v_readlane_b32 s0, v250, 11
	v_readlane_b32 s1, v250, 12
	s_add_nc_u64 s[0:1], s[2:3], s[0:1]
	.loc	1 222 53                        ; attention_bwd.py:222:53
	s_wait_alu depctr_sa_sdst(0)
	v_add_co_u32 v74, vcc_lo, s0, v20
	s_wait_alu depctr_va_vcc(0)
	v_add_co_ci_u32_e64 v75, null, s1, v21, vcc_lo
	.loc	1 222 22                        ; attention_bwd.py:222:22
	v_readlane_b32 s0, v250, 13
	v_readlane_b32 s1, v250, 14
	s_add_nc_u64 s[0:1], s[2:3], s[0:1]
	.loc	1 210 22 is_stmt 1              ; attention_bwd.py:210:22
	s_wait_loadcnt 0x0
	global_store_b16 v[102:103], v0, off
	.loc	1 222 53                        ; attention_bwd.py:222:53
	s_wait_alu depctr_sa_sdst(0)
	v_add_co_u32 v0, vcc_lo, s0, v20
	s_wait_alu depctr_va_vcc(0)
	v_add_co_ci_u32_e64 v1, null, s1, v21, vcc_lo
	.loc	1 222 22 is_stmt 0              ; attention_bwd.py:222:22
	v_readlane_b32 s0, v250, 15
	v_readlane_b32 s1, v250, 16
	scratch_store_b64 off, v[0:1], off offset:192 ; 8-byte Folded Spill
	.loc	1 210 22 is_stmt 1              ; attention_bwd.py:210:22
	scratch_load_b32 v0, off, off offset:160 th:TH_LOAD_LU ; 4-byte Folded Reload
	.loc	1 222 22                        ; attention_bwd.py:222:22
	s_add_nc_u64 s[0:1], s[2:3], s[0:1]
	.loc	1 222 53 is_stmt 0              ; attention_bwd.py:222:53
	s_wait_alu depctr_sa_sdst(0)
	v_add_co_u32 v146, vcc_lo, s0, v20
	s_wait_alu depctr_va_vcc(0)
	v_add_co_ci_u32_e64 v147, null, s1, v21, vcc_lo
	.loc	1 222 22                        ; attention_bwd.py:222:22
	v_readlane_b32 s0, v251, 25
	v_readlane_b32 s1, v251, 26
	s_add_nc_u64 s[0:1], s[2:3], s[0:1]
	.loc	1 222 53                        ; attention_bwd.py:222:53
	s_wait_alu depctr_sa_sdst(0)
	v_add_co_u32 v106, vcc_lo, s0, v20
	s_wait_alu depctr_va_vcc(0)
	v_add_co_ci_u32_e64 v107, null, s1, v21, vcc_lo
	.loc	1 222 22                        ; attention_bwd.py:222:22
	v_readlane_b32 s0, v250, 17
	v_readlane_b32 s1, v250, 18
	s_add_nc_u64 s[0:1], s[2:3], s[0:1]
	.loc	1 210 22 is_stmt 1              ; attention_bwd.py:210:22
	s_wait_loadcnt 0x0
	global_store_b16 v[96:97], v0, off
	scratch_load_b32 v0, off, off offset:128 th:TH_LOAD_LU ; 4-byte Folded Reload
	.loc	1 222 53                        ; attention_bwd.py:222:53
	s_wait_alu depctr_sa_sdst(0)
	v_add_co_u32 v96, vcc_lo, s0, v20
	s_wait_alu depctr_va_vcc(0)
	v_add_co_ci_u32_e64 v97, null, s1, v21, vcc_lo
	.loc	1 222 22 is_stmt 0              ; attention_bwd.py:222:22
	v_readlane_b32 s0, v251, 27
	v_readlane_b32 s1, v251, 28
	s_add_nc_u64 s[0:1], s[2:3], s[0:1]
	.loc	1 210 22 is_stmt 1              ; attention_bwd.py:210:22
	s_wait_loadcnt 0x0
	global_store_b16 v[86:87], v0, off
	scratch_load_b32 v0, off, off offset:96 th:TH_LOAD_LU ; 4-byte Folded Reload
	.loc	1 222 53                        ; attention_bwd.py:222:53
	s_wait_alu depctr_sa_sdst(0)
	v_add_co_u32 v86, vcc_lo, s0, v20
	s_wait_alu depctr_va_vcc(0)
	v_add_co_ci_u32_e64 v87, null, s1, v21, vcc_lo
	.loc	1 222 22 is_stmt 0              ; attention_bwd.py:222:22
	;; [unrolled: 13-line block ×4, first 2 shown]
	v_readlane_b32 s0, v250, 21
	v_readlane_b32 s1, v250, 22
	s_add_nc_u64 s[0:1], s[2:3], s[0:1]
	.loc	1 210 22 is_stmt 1              ; attention_bwd.py:210:22
	s_wait_loadcnt 0x0
	global_store_b16 v[98:99], v0, off
	scratch_load_b32 v0, off, off th:TH_LOAD_LU ; 4-byte Folded Reload
	.loc	1 222 53                        ; attention_bwd.py:222:53
	s_wait_alu depctr_sa_sdst(0)
	v_add_co_u32 v98, vcc_lo, s0, v20
	s_wait_alu depctr_va_vcc(0)
	v_add_co_ci_u32_e64 v99, null, s1, v21, vcc_lo
	.loc	1 222 22 is_stmt 0              ; attention_bwd.py:222:22
	v_readlane_b32 s0, v251, 29
	v_readlane_b32 s1, v251, 30
	s_add_nc_u64 s[0:1], s[2:3], s[0:1]
	.loc	1 222 53                        ; attention_bwd.py:222:53
	s_wait_alu depctr_sa_sdst(0)
	v_add_co_u32 v102, vcc_lo, s0, v20
	s_wait_alu depctr_va_vcc(0)
	v_add_co_ci_u32_e64 v103, null, s1, v21, vcc_lo
	.loc	1 222 22                        ; attention_bwd.py:222:22
	v_readlane_b32 s0, v251, 31
	v_readlane_b32 s1, v253, 0
	s_add_nc_u64 s[0:1], s[2:3], s[0:1]
	.loc	1 210 22 is_stmt 1              ; attention_bwd.py:210:22
	s_wait_loadcnt 0x0
	global_store_b16 v[108:109], v0, off
	.loc	1 222 53                        ; attention_bwd.py:222:53
	s_wait_alu depctr_sa_sdst(0)
	v_add_co_u32 v108, vcc_lo, s0, v20
	s_wait_alu depctr_va_vcc(0)
	v_add_co_ci_u32_e64 v109, null, s1, v21, vcc_lo
	.loc	1 222 22 is_stmt 0              ; attention_bwd.py:222:22
	v_readlane_b32 s0, v253, 1
	v_readlane_b32 s1, v253, 2
	s_add_nc_u64 s[0:1], s[2:3], s[0:1]
	.loc	1 222 53                        ; attention_bwd.py:222:53
	s_wait_alu depctr_sa_sdst(0)
	v_add_co_u32 v112, vcc_lo, s0, v20
	s_wait_alu depctr_va_vcc(0)
	v_add_co_ci_u32_e64 v113, null, s1, v21, vcc_lo
	.loc	1 222 22                        ; attention_bwd.py:222:22
	v_readlane_b32 s0, v253, 3
	v_readlane_b32 s1, v253, 4
	s_add_nc_u64 s[0:1], s[2:3], s[0:1]
	.loc	1 222 53                        ; attention_bwd.py:222:53
	s_wait_alu depctr_sa_sdst(0)
	v_add_co_u32 v114, vcc_lo, s0, v20
	s_wait_alu depctr_va_vcc(0)
	v_add_co_ci_u32_e64 v115, null, s1, v21, vcc_lo
	.loc	1 222 22                        ; attention_bwd.py:222:22
	;; [unrolled: 9-line block ×3, first 2 shown]
	s_add_nc_u64 s[0:1], s[2:3], s[102:103]
	s_add_nc_u64 s[102:103], s[2:3], s[90:91]
	.loc	1 222 53                        ; attention_bwd.py:222:53
	s_wait_alu depctr_sa_sdst(0)
	v_add_co_u32 v120, vcc_lo, s0, v20
	s_wait_alu depctr_va_vcc(0)
	v_add_co_ci_u32_e64 v121, null, s1, v21, vcc_lo
	.loc	1 222 22                        ; attention_bwd.py:222:22
	s_add_nc_u64 s[0:1], s[2:3], s[98:99]
	s_add_nc_u64 s[98:99], s[2:3], s[86:87]
	.loc	1 222 53                        ; attention_bwd.py:222:53
	s_wait_alu depctr_sa_sdst(0)
	v_add_co_u32 v124, vcc_lo, s0, v20
	s_wait_alu depctr_va_vcc(0)
	v_add_co_ci_u32_e64 v125, null, s1, v21, vcc_lo
	.loc	1 222 22                        ; attention_bwd.py:222:22
	;; [unrolled: 8-line block ×5, first 2 shown]
	v_readlane_b32 s0, v253, 17
	v_readlane_b32 s1, v253, 18
	s_add_nc_u64 s[94:95], s[2:3], s[74:75]
	s_add_nc_u64 s[90:91], s[2:3], s[70:71]
	;; [unrolled: 1-line block ×4, first 2 shown]
	s_add_nc_u64 vcc, s[2:3], s[0:1]
	s_add_nc_u64 s[86:87], s[2:3], s[76:77]
	.loc	1 222 53                        ; attention_bwd.py:222:53
	s_wait_alu depctr_sa_sdst(0)
	v_add_co_u32 v238, vcc_lo, vcc_lo, v20
	s_wait_alu depctr_va_vcc(0)
	v_add_co_ci_u32_e64 v239, null, vcc_hi, v21, vcc_lo
	v_add_co_u32 v240, vcc_lo, s34, v20
	s_wait_alu depctr_va_vcc(0)
	v_add_co_ci_u32_e64 v241, null, s35, v21, vcc_lo
	v_add_co_u32 v242, vcc_lo, s30, v20
	s_wait_alu depctr_va_vcc(0)
	v_add_co_ci_u32_e64 v243, null, s31, v21, vcc_lo
	;; [unrolled: 3-line block ×12, first 2 shown]
	v_add_co_u32 v204, vcc_lo, s36, v20
	.loc	1 222 22                        ; attention_bwd.py:222:22
	s_add_nc_u64 s[84:85], s[2:3], s[78:79]
	.loc	1 222 53                        ; attention_bwd.py:222:53
	s_wait_alu depctr_va_vcc(0)
	v_add_co_ci_u32_e64 v205, null, s37, v21, vcc_lo
	v_add_co_u32 v206, vcc_lo, s86, v20
	s_wait_alu depctr_va_vcc(0)
	v_add_co_ci_u32_e64 v207, null, s87, v21, vcc_lo
	s_wait_alu depctr_sa_sdst(0)
	v_add_co_u32 v208, vcc_lo, s84, v20
	s_wait_alu depctr_va_vcc(0)
	v_add_co_ci_u32_e64 v209, null, s85, v21, vcc_lo
	v_add_co_u32 v148, vcc_lo, s82, v20
	.loc	1 222 22                        ; attention_bwd.py:222:22
	s_add_nc_u64 s[0:1], s[2:3], s[66:67]
	.loc	1 222 53                        ; attention_bwd.py:222:53
	s_wait_alu depctr_va_vcc(0)
	v_add_co_ci_u32_e64 v149, null, s83, v21, vcc_lo
	v_add_co_u32 v150, vcc_lo, s60, v20
	.loc	1 222 22                        ; attention_bwd.py:222:22
	s_add_nc_u64 s[78:79], s[2:3], s[64:65]
	.loc	1 222 53                        ; attention_bwd.py:222:53
	s_wait_alu depctr_va_vcc(0)
	v_add_co_ci_u32_e64 v151, null, s61, v21, vcc_lo
	s_wait_alu depctr_sa_sdst(0)
	v_add_co_u32 v152, vcc_lo, s0, v20
	.loc	1 222 22                        ; attention_bwd.py:222:22
	s_add_nc_u64 s[76:77], s[2:3], s[80:81]
	.loc	1 222 53                        ; attention_bwd.py:222:53
	s_wait_alu depctr_va_vcc(0)
	v_add_co_ci_u32_e64 v153, null, s1, v21, vcc_lo
	v_add_co_u32 v154, vcc_lo, s78, v20
	.loc	1 222 22                        ; attention_bwd.py:222:22
	s_add_nc_u64 s[74:75], s[2:3], s[62:63]
	.loc	1 222 53                        ; attention_bwd.py:222:53
	s_wait_alu depctr_va_vcc(0)
	v_add_co_ci_u32_e64 v155, null, s79, v21, vcc_lo
	s_wait_alu depctr_sa_sdst(0)
	v_add_co_u32 v156, vcc_lo, s76, v20
	s_wait_alu depctr_va_vcc(0)
	v_add_co_ci_u32_e64 v157, null, s77, v21, vcc_lo
	v_add_co_u32 v158, vcc_lo, s74, v20
	.loc	1 222 22                        ; attention_bwd.py:222:22
	s_add_nc_u64 s[70:71], s[2:3], s[56:57]
	.loc	1 222 53                        ; attention_bwd.py:222:53
	s_wait_alu depctr_va_vcc(0)
	v_add_co_ci_u32_e64 v159, null, s75, v21, vcc_lo
	v_add_co_u32 v160, vcc_lo, s72, v20
	.loc	1 222 22                        ; attention_bwd.py:222:22
	s_add_nc_u64 s[68:69], s[2:3], s[54:55]
	.loc	1 222 53                        ; attention_bwd.py:222:53
	s_wait_alu depctr_va_vcc(0)
	v_add_co_ci_u32_e64 v161, null, s73, v21, vcc_lo
	s_wait_alu depctr_sa_sdst(0)
	v_add_co_u32 v162, vcc_lo, s70, v20
	.loc	1 222 22                        ; attention_bwd.py:222:22
	s_add_nc_u64 s[66:67], s[2:3], s[52:53]
	.loc	1 222 53                        ; attention_bwd.py:222:53
	s_wait_alu depctr_va_vcc(0)
	v_add_co_ci_u32_e64 v163, null, s71, v21, vcc_lo
	v_add_co_u32 v164, vcc_lo, s68, v20
	.loc	1 222 22                        ; attention_bwd.py:222:22
	s_add_nc_u64 s[64:65], s[2:3], s[50:51]
	.loc	1 222 53                        ; attention_bwd.py:222:53
	s_wait_alu depctr_va_vcc(0)
	v_add_co_ci_u32_e64 v165, null, s69, v21, vcc_lo
	s_wait_alu depctr_sa_sdst(0)
	;; [unrolled: 13-line block ×3, first 2 shown]
	v_add_co_u32 v170, vcc_lo, s62, v20
	s_wait_alu depctr_va_vcc(0)
	v_add_co_ci_u32_e64 v171, null, s63, v21, vcc_lo
	v_add_co_u32 v172, vcc_lo, s80, v20
	.loc	1 222 22                        ; attention_bwd.py:222:22
	s_add_nc_u64 s[56:57], s[2:3], s[42:43]
	.loc	1 222 53                        ; attention_bwd.py:222:53
	s_wait_alu depctr_va_vcc(0)
	v_add_co_ci_u32_e64 v173, null, s81, v21, vcc_lo
	v_add_co_u32 v174, vcc_lo, s58, v20
	.loc	1 222 22                        ; attention_bwd.py:222:22
	s_add_nc_u64 s[54:55], s[2:3], s[40:41]
	.loc	1 222 53                        ; attention_bwd.py:222:53
	s_wait_alu depctr_va_vcc(0)
	v_add_co_ci_u32_e64 v175, null, s59, v21, vcc_lo
	s_wait_alu depctr_sa_sdst(0)
	v_add_co_u32 v176, vcc_lo, s56, v20
	.loc	1 222 22                        ; attention_bwd.py:222:22
	s_add_nc_u64 s[52:53], s[2:3], s[38:39]
	.loc	1 222 53                        ; attention_bwd.py:222:53
	s_wait_alu depctr_va_vcc(0)
	v_add_co_ci_u32_e64 v177, null, s57, v21, vcc_lo
	v_add_co_u32 v178, vcc_lo, s54, v20
	.loc	1 222 22                        ; attention_bwd.py:222:22
	s_add_nc_u64 s[50:51], s[2:3], s[24:25]
	.loc	1 222 53                        ; attention_bwd.py:222:53
	s_wait_alu depctr_va_vcc(0)
	v_add_co_ci_u32_e64 v179, null, s55, v21, vcc_lo
	s_wait_alu depctr_sa_sdst(0)
	;; [unrolled: 13-line block ×3, first 2 shown]
	v_add_co_u32 v218, vcc_lo, s48, v20
	s_wait_alu depctr_va_vcc(0)
	v_add_co_ci_u32_e64 v219, null, s49, v21, vcc_lo
	v_add_co_u32 v220, vcc_lo, s46, v20
	.loc	1 222 22                        ; attention_bwd.py:222:22
	s_add_nc_u64 s[38:39], s[2:3], s[16:17]
	.loc	1 222 53                        ; attention_bwd.py:222:53
	s_wait_alu depctr_va_vcc(0)
	v_add_co_ci_u32_e64 v221, null, s47, v21, vcc_lo
	v_add_co_u32 v182, vcc_lo, s44, v20
	s_wait_alu depctr_va_vcc(0)
	v_add_co_ci_u32_e64 v183, null, s45, v21, vcc_lo
	s_wait_alu depctr_sa_sdst(0)
	v_add_co_u32 v9, vcc_lo, s38, v20
	s_wait_alu depctr_va_vcc(0)
	v_add_co_ci_u32_e64 v10, null, s39, v21, vcc_lo
	v_add_co_u32 v7, vcc_lo, s18, v20
	s_wait_alu depctr_va_vcc(0)
	v_add_co_ci_u32_e64 v8, null, s19, v21, vcc_lo
	;; [unrolled: 3-line block ×3, first 2 shown]
	v_add_co_u32 v3, vcc_lo, s10, v20
	.loc	1 222 22                        ; attention_bwd.py:222:22
	s_add_nc_u64 s[2:3], s[2:3], s[4:5]
	.loc	1 222 53                        ; attention_bwd.py:222:53
	s_wait_alu depctr_va_vcc(0)
	v_add_co_ci_u32_e64 v4, null, s11, v21, vcc_lo
	v_add_co_u32 v1, vcc_lo, s6, v20
	s_wait_alu depctr_va_vcc(0)
	v_add_co_ci_u32_e64 v2, null, s7, v21, vcc_lo
	s_wait_alu depctr_sa_sdst(0)
	v_add_co_u32 v248, vcc_lo, s2, v20
	s_wait_alu depctr_va_vcc(0)
	v_add_co_ci_u32_e64 v249, null, s3, v21, vcc_lo
	.loc	1 220 16 is_stmt 1              ; attention_bwd.py:220:16
	scratch_load_b64 v[20:21], off, off offset:636 th:TH_LOAD_LU ; 8-byte Folded Reload
	s_wait_loadcnt 0x0
	s_clause 0x1
	global_load_u16 v227, v[20:21], off
	global_load_u16 v20, v[11:12], off
	scratch_load_b64 v[11:12], off, off offset:628 th:TH_LOAD_LU ; 8-byte Folded Reload
	s_wait_loadcnt 0x0
	s_clause 0x1
	global_load_u16 v21, v[11:12], off
	global_load_u16 v16, v[16:17], off
	scratch_load_b64 v[11:12], off, off offset:620 th:TH_LOAD_LU ; 8-byte Folded Reload
	s_wait_loadcnt 0x0
	global_load_u16 v17, v[11:12], off
	scratch_load_b64 v[11:12], off, off offset:652 th:TH_LOAD_LU ; 8-byte Folded Reload
	s_wait_loadcnt 0x0
	s_clause 0x1
	global_load_u16 v12, v[11:12], off
	global_load_u16 v13, v[29:30], off
	scratch_load_b64 v[29:30], off, off offset:612 th:TH_LOAD_LU ; 8-byte Folded Reload
	s_wait_loadcnt 0x0
	global_load_u16 v0, v[29:30], off
	scratch_load_b64 v[29:30], off, off offset:644 th:TH_LOAD_LU ; 8-byte Folded Reload
	s_wait_loadcnt 0x0
	s_clause 0x3
	global_load_u16 v11, v[29:30], off
	global_load_u16 v24, v[27:28], off
	;; [unrolled: 1-line block ×4, first 2 shown]
	scratch_load_b64 v[18:19], off, off offset:660 th:TH_LOAD_LU ; 8-byte Folded Reload
	s_wait_loadcnt 0x0
	s_clause 0x2
	global_load_u16 v18, v[18:19], off
	global_load_u16 v19, v[22:23], off
	;; [unrolled: 1-line block ×3, first 2 shown]
	scratch_load_b64 v[22:23], off, off offset:668 th:TH_LOAD_LU ; 8-byte Folded Reload
	s_wait_loadcnt 0x0
	s_clause 0x1f
	global_load_u16 v22, v[22:23], off
	global_load_u16 v23, v[32:33], off
	;; [unrolled: 1-line block ×32, first 2 shown]
	s_clause 0x10
	global_load_u16 v56, v[104:105], off
	global_load_u16 v57, v[132:133], off
	;; [unrolled: 1-line block ×17, first 2 shown]
	v_readlane_b32 s0, v252, 21
	v_readlane_b32 s1, v252, 22
	;; [unrolled: 1-line block ×4, first 2 shown]
	s_wait_loadcnt 0x0
	s_wait_storecnt 0x0
	s_barrier_signal -1
	s_barrier_wait -1
	global_inv scope:SCOPE_SE
	s_clause 0x1                            ; 8-byte Folded Reload
	scratch_load_b32 v77, off, off offset:1372 th:TH_LOAD_LU
	scratch_load_b32 v78, off, off offset:1376 th:TH_LOAD_LU
	s_wait_loadcnt 0x1
	ds_store_b16 v77, v227
	ds_store_b16 v77, v20 offset:1024
	ds_store_b16 v77, v11 offset:2048
	;; [unrolled: 1-line block ×15, first 2 shown]
	s_wait_loadcnt 0x0
	ds_store_b16 v78, v21 offset:256
	ds_store_b16 v78, v16 offset:1280
	;; [unrolled: 1-line block ×16, first 2 shown]
	s_clause 0x1                            ; 8-byte Folded Reload
	scratch_load_b32 v67, off, off offset:1380 th:TH_LOAD_LU
	scratch_load_b32 v68, off, off offset:1384 th:TH_LOAD_LU
	s_wait_loadcnt 0x1
	ds_store_b16 v67, v17 offset:512
	ds_store_b16 v67, v12 offset:1536
	;; [unrolled: 1-line block ×16, first 2 shown]
	s_wait_loadcnt 0x0
	ds_store_b16 v68, v0 offset:768
	ds_store_b16 v68, v13 offset:1792
	;; [unrolled: 1-line block ×16, first 2 shown]
	s_wait_dscnt 0x0
	s_barrier_signal -1
	s_barrier_wait -1
	global_inv scope:SCOPE_SE
	.loc	1 222 17                        ; attention_bwd.py:222:17
	s_clause 0x6
	global_load_u16 v0, v[134:135], off
	global_load_u16 v11, v[146:147], off
	;; [unrolled: 1-line block ×7, first 2 shown]
	scratch_load_b64 v[17:18], off, off offset:192 th:TH_LOAD_LU ; 8-byte Folded Reload
	s_wait_loadcnt 0x0
	s_clause 0x1f
	global_load_u16 v17, v[17:18], off
	global_load_u16 v18, v[90:91], off
	;; [unrolled: 1-line block ×32, first 2 shown]
	s_clause 0x18
	global_load_u16 v49, v[206:207], off
	global_load_u16 v50, v[154:155], off
	;; [unrolled: 1-line block ×25, first 2 shown]
	s_clause 0x3                            ; 16-byte Folded Reload
	scratch_load_b32 v8, off, off offset:1388 th:TH_LOAD_LU
	scratch_load_b32 v69, off, off offset:1400 th:TH_LOAD_LU
	;; [unrolled: 1-line block ×4, first 2 shown]
	.loc	1 220 16                        ; attention_bwd.py:220:16
	s_wait_loadcnt 0x3
	ds_load_b128 v[100:103], v8
	ds_load_b128 v[96:99], v8 offset:8192
	s_wait_loadcnt 0x2
	ds_load_b128 v[162:165], v69
	ds_load_b128 v[104:107], v69 offset:8192
	;; [unrolled: 3-line block ×4, first 2 shown]
	v_dual_mov_b32 v128, 0 :: v_dual_mov_b32 v129, 0
	s_wait_dscnt 0x1
	scratch_store_b128 off, v[20:23], off offset:756 ; 16-byte Folded Spill
	.loc	1 222 17                        ; attention_bwd.py:222:17
	s_wait_storecnt_dscnt 0x0
	s_barrier_signal -1
	s_barrier_wait -1
	global_inv scope:SCOPE_SE
	ds_store_b16 v77, v0
	ds_store_b16 v77, v11 offset:1024
	ds_store_b16 v77, v18 offset:2048
	;; [unrolled: 1-line block ×63, first 2 shown]
	.loc	1 165 23                        ; attention_bwd.py:165:23
	scratch_load_b32 v0, off, off offset:1404 th:TH_LOAD_LU ; 4-byte Folded Reload
	s_wait_loadcnt 0x0
	v_or_b32_e32 v0, s104, v0
	s_delay_alu instid0(VALU_DEP_1) | instskip(NEXT) | instid1(VALU_DEP_1)
	.loc	1 224 20                        ; attention_bwd.py:224:20
	v_ashrrev_i32_e32 v1, 31, v0
	v_lshlrev_b64_e32 v[0:1], 2, v[0:1]
	s_wait_alu depctr_va_sdst(0)
	s_delay_alu instid0(VALU_DEP_1) | instskip(SKIP_1) | instid1(VALU_DEP_2)
	v_add_co_u32 v2, vcc_lo, s0, v0
	s_wait_alu depctr_va_vcc(0)
	v_add_co_ci_u32_e64 v3, null, s1, v1, vcc_lo
	v_readlane_b32 s0, v251, 17
	v_readlane_b32 s1, v251, 18
.Ltmp44:
	.loc	1 102 21                        ; attention_bwd.py:102:21 @[ attention_bwd.py:253:40 ]
	s_and_b32 vcc_lo, exec_lo, s33
.Ltmp45:
	.loc	1 222 17                        ; attention_bwd.py:222:17
	s_wait_dscnt 0x0
	s_barrier_signal -1
	s_barrier_wait -1
	global_inv scope:SCOPE_SE
.Ltmp46:
	.loc	1 105 30                        ; attention_bwd.py:105:30 @[ attention_bwd.py:253:40 ]
	global_load_b32 v3, v[2:3], off
.Ltmp47:
	.loc	1 222 17                        ; attention_bwd.py:222:17
	ds_load_b128 v[175:178], v8
	ds_load_b128 v[171:174], v8 offset:8192
	ds_load_b128 v[15:18], v69
	ds_load_b128 v[11:14], v69 offset:8192
	;; [unrolled: 2-line block ×4, first 2 shown]
	s_wait_dscnt 0x3
	scratch_store_b128 off, v[4:7], off offset:772 ; 16-byte Folded Spill
.Ltmp48:
	.loc	1 105 30                        ; attention_bwd.py:105:30 @[ attention_bwd.py:253:40 ]
	s_wait_storecnt 0x0
	s_wait_loadcnt_dscnt 0x0
	s_barrier_signal -1
	scratch_load_b32 v2, off, off offset:1408 th:TH_LOAD_LU ; 4-byte Folded Reload
	s_barrier_wait -1
	s_wait_loadcnt 0x0
	global_inv scope:SCOPE_SE
	v_add_nc_u32_e32 v2, v234, v2
	ds_store_b32 v2, v3
	s_wait_loadcnt_dscnt 0x0
	s_barrier_signal -1
	s_barrier_wait -1
	global_inv scope:SCOPE_SE
	scratch_load_b64 v[64:65], off, off offset:1364 ; 8-byte Folded Reload
	.loc	1 93 18                         ; attention_bwd.py:93:18 @[ attention_bwd.py:253:40 ]
	s_wait_loadcnt 0x0
	s_wait_alu depctr_va_sdst(0)
	v_add_co_u32 v3, s0, s0, v64
	s_wait_alu depctr_va_sdst(0)
	v_add_co_ci_u32_e64 v4, null, s1, v65, s0
	.loc	1 102 21                        ; attention_bwd.py:102:21 @[ attention_bwd.py:253:40 ]
	s_wait_alu depctr_sa_sdst(0)
	s_cbranch_vccnz .LBB0_80
; %bb.79:
	.loc	1 93 49                         ; attention_bwd.py:93:49 @[ attention_bwd.py:253:40 ]
	s_lshl_b64 s[0:1], s[6:7], 1
	s_wait_alu depctr_sa_sdst(0)
	v_add_co_u32 v5, vcc_lo, v3, s0
	s_wait_alu depctr_va_vcc(0)
	v_add_co_ci_u32_e64 v6, null, s1, v4, vcc_lo
	.loc	1 102 21                        ; attention_bwd.py:102:21 @[ attention_bwd.py:253:40 ]
	global_load_u16 v129, v[5:6], off
.LBB0_80:
	.loc	1 0 21 is_stmt 0                ; attention_bwd.py:0:21
	v_readlane_b32 s14, v252, 28
	v_readlane_b32 s16, v252, 30
	;; [unrolled: 1-line block ×22, first 2 shown]
	.loc	1 102 21                        ; attention_bwd.py:102:21 @[ attention_bwd.py:253:40 ]
	s_and_b32 vcc_lo, exec_lo, s33
	s_clause 0x1                            ; 32-byte Folded Spill
	scratch_store_b128 off, v[15:18], off offset:740
	scratch_store_b128 off, v[11:14], off offset:724
	s_wait_alu depctr_sa_sdst(0)
	s_cbranch_vccnz .LBB0_82
; %bb.81:
	.loc	1 93 49 is_stmt 1               ; attention_bwd.py:93:49 @[ attention_bwd.py:253:40 ]
	s_lshl_b64 s[0:1], s[14:15], 1
	s_wait_alu depctr_sa_sdst(0)
	v_add_co_u32 v5, vcc_lo, v3, s0
	s_wait_alu depctr_va_vcc(0)
	v_add_co_ci_u32_e64 v6, null, s1, v4, vcc_lo
	.loc	1 102 21                        ; attention_bwd.py:102:21 @[ attention_bwd.py:253:40 ]
	global_load_u16 v128, v[5:6], off
.LBB0_82:
	.loc	1 0 21 is_stmt 0                ; attention_bwd.py:0:21
	scratch_load_b32 v7, off, off offset:1360 ; 4-byte Folded Reload
	v_readlane_b32 s28, v255, 10
	v_readlane_b32 s30, v255, 12
	;; [unrolled: 1-line block ×4, first 2 shown]
	v_dual_mov_b32 v130, 0 :: v_dual_mov_b32 v131, 0
	v_readlane_b32 s2, v250, 9
	v_readlane_b32 s29, v255, 11
	;; [unrolled: 1-line block ×5, first 2 shown]
	.loc	1 102 21                        ; attention_bwd.py:102:21 @[ attention_bwd.py:253:40 ]
	s_and_b32 vcc_lo, exec_lo, s33
	s_wait_alu depctr_sa_sdst(0)
	s_cbranch_vccz .LBB0_123
; %bb.83:
	s_and_b32 vcc_lo, exec_lo, s33
	s_wait_alu depctr_sa_sdst(0)
	s_cbranch_vccz .LBB0_124
.LBB0_84:
	.loc	1 0 21                          ; attention_bwd.py:0:21
	v_dual_mov_b32 v132, 0 :: v_dual_mov_b32 v133, 0
	.loc	1 102 21                        ; attention_bwd.py:102:21 @[ attention_bwd.py:253:40 ]
	s_and_b32 vcc_lo, exec_lo, s33
	s_wait_alu depctr_sa_sdst(0)
	s_cbranch_vccz .LBB0_125
.LBB0_85:
	s_and_b32 vcc_lo, exec_lo, s33
	s_wait_alu depctr_sa_sdst(0)
	s_cbranch_vccz .LBB0_126
.LBB0_86:
	.loc	1 0 21                          ; attention_bwd.py:0:21
	v_dual_mov_b32 v134, 0 :: v_dual_mov_b32 v135, 0
	.loc	1 102 21                        ; attention_bwd.py:102:21 @[ attention_bwd.py:253:40 ]
	s_and_b32 vcc_lo, exec_lo, s33
	s_wait_alu depctr_sa_sdst(0)
	s_cbranch_vccz .LBB0_127
.LBB0_87:
	s_and_b32 vcc_lo, exec_lo, s33
	s_wait_alu depctr_sa_sdst(0)
	s_cbranch_vccz .LBB0_128
.LBB0_88:
	.loc	1 0 21                          ; attention_bwd.py:0:21
	v_dual_mov_b32 v136, 0 :: v_dual_mov_b32 v137, 0
	.loc	1 102 21                        ; attention_bwd.py:102:21 @[ attention_bwd.py:253:40 ]
	s_and_b32 vcc_lo, exec_lo, s33
	s_wait_alu depctr_sa_sdst(0)
	s_cbranch_vccz .LBB0_129
.LBB0_89:
	s_and_b32 vcc_lo, exec_lo, s33
	s_wait_alu depctr_sa_sdst(0)
	s_cbranch_vccz .LBB0_130
.LBB0_90:
	.loc	1 0 21                          ; attention_bwd.py:0:21
	v_dual_mov_b32 v138, 0 :: v_dual_mov_b32 v139, 0
	.loc	1 102 21                        ; attention_bwd.py:102:21 @[ attention_bwd.py:253:40 ]
	s_and_b32 vcc_lo, exec_lo, s33
	s_wait_alu depctr_sa_sdst(0)
	s_cbranch_vccz .LBB0_131
.LBB0_91:
	s_and_b32 vcc_lo, exec_lo, s33
	s_wait_alu depctr_sa_sdst(0)
	s_cbranch_vccz .LBB0_132
.LBB0_92:
	.loc	1 0 21                          ; attention_bwd.py:0:21
	v_dual_mov_b32 v140, 0 :: v_dual_mov_b32 v141, 0
	.loc	1 102 21                        ; attention_bwd.py:102:21 @[ attention_bwd.py:253:40 ]
	s_and_b32 vcc_lo, exec_lo, s33
	s_wait_alu depctr_sa_sdst(0)
	s_cbranch_vccz .LBB0_133
.LBB0_93:
	s_and_b32 vcc_lo, exec_lo, s33
	s_wait_alu depctr_sa_sdst(0)
	s_cbranch_vccz .LBB0_134
.LBB0_94:
	.loc	1 0 21                          ; attention_bwd.py:0:21
	v_dual_mov_b32 v142, 0 :: v_dual_mov_b32 v143, 0
	.loc	1 102 21                        ; attention_bwd.py:102:21 @[ attention_bwd.py:253:40 ]
	s_and_b32 vcc_lo, exec_lo, s33
	s_wait_alu depctr_sa_sdst(0)
	s_cbranch_vccz .LBB0_135
.LBB0_95:
	s_and_b32 vcc_lo, exec_lo, s33
	s_wait_alu depctr_sa_sdst(0)
	s_cbranch_vccnz .LBB0_97
.LBB0_96:
	.loc	1 93 49 is_stmt 1               ; attention_bwd.py:93:49 @[ attention_bwd.py:253:40 ]
	s_lshl_b64 s[0:1], s[12:13], 1
	s_wait_alu depctr_sa_sdst(0)
	v_add_co_u32 v3, vcc_lo, v3, s0
	s_wait_alu depctr_va_vcc(0)
	v_add_co_ci_u32_e64 v4, null, s1, v4, vcc_lo
	.loc	1 102 21                        ; attention_bwd.py:102:21 @[ attention_bwd.py:253:40 ]
	global_load_u16 v142, v[3:4], off
.LBB0_97:
	.loc	1 0 21 is_stmt 0                ; attention_bwd.py:0:21
	v_readlane_b32 s0, v252, 11
	v_readlane_b32 s1, v252, 12
	v_dual_mov_b32 v144, 0 :: v_dual_mov_b32 v145, 0
	.loc	1 94 18 is_stmt 1               ; attention_bwd.py:94:18 @[ attention_bwd.py:253:40 ]
	s_wait_alu depctr_va_sdst(0)
	s_delay_alu instid0(VALU_DEP_3)
	v_add_co_u32 v3, vcc_lo, s0, v64
	s_wait_alu depctr_va_vcc(0)
	v_add_co_ci_u32_e64 v4, null, s1, v65, vcc_lo
	.loc	1 103 21                        ; attention_bwd.py:103:21 @[ attention_bwd.py:253:40 ]
	s_and_b32 vcc_lo, exec_lo, s33
	s_wait_alu depctr_sa_sdst(0)
	s_cbranch_vccz .LBB0_136
; %bb.98:
	s_and_b32 vcc_lo, exec_lo, s33
	s_wait_alu depctr_sa_sdst(0)
	s_cbranch_vccz .LBB0_137
.LBB0_99:
	.loc	1 0 21 is_stmt 0                ; attention_bwd.py:0:21
	v_dual_mov_b32 v146, 0 :: v_dual_mov_b32 v147, 0
	.loc	1 103 21                        ; attention_bwd.py:103:21 @[ attention_bwd.py:253:40 ]
	s_and_b32 vcc_lo, exec_lo, s33
	s_wait_alu depctr_sa_sdst(0)
	s_cbranch_vccz .LBB0_138
.LBB0_100:
	s_and_b32 vcc_lo, exec_lo, s33
	s_wait_alu depctr_sa_sdst(0)
	s_cbranch_vccz .LBB0_139
.LBB0_101:
	.loc	1 0 21                          ; attention_bwd.py:0:21
	v_dual_mov_b32 v148, 0 :: v_dual_mov_b32 v149, 0
	.loc	1 103 21                        ; attention_bwd.py:103:21 @[ attention_bwd.py:253:40 ]
	s_and_b32 vcc_lo, exec_lo, s33
	s_wait_alu depctr_sa_sdst(0)
	s_cbranch_vccz .LBB0_140
.LBB0_102:
	s_and_b32 vcc_lo, exec_lo, s33
	s_wait_alu depctr_sa_sdst(0)
	s_cbranch_vccz .LBB0_141
.LBB0_103:
	.loc	1 0 21                          ; attention_bwd.py:0:21
	v_dual_mov_b32 v150, 0 :: v_dual_mov_b32 v151, 0
	.loc	1 103 21                        ; attention_bwd.py:103:21 @[ attention_bwd.py:253:40 ]
	s_and_b32 vcc_lo, exec_lo, s33
	s_wait_alu depctr_sa_sdst(0)
	s_cbranch_vccz .LBB0_142
.LBB0_104:
	s_and_b32 vcc_lo, exec_lo, s33
	s_wait_alu depctr_sa_sdst(0)
	s_cbranch_vccz .LBB0_143
.LBB0_105:
	.loc	1 0 21                          ; attention_bwd.py:0:21
	v_dual_mov_b32 v152, 0 :: v_dual_mov_b32 v153, 0
	.loc	1 103 21                        ; attention_bwd.py:103:21 @[ attention_bwd.py:253:40 ]
	s_and_b32 vcc_lo, exec_lo, s33
	s_wait_alu depctr_sa_sdst(0)
	s_cbranch_vccz .LBB0_144
.LBB0_106:
	s_and_b32 vcc_lo, exec_lo, s33
	s_wait_alu depctr_sa_sdst(0)
	s_cbranch_vccz .LBB0_145
.LBB0_107:
	.loc	1 0 21                          ; attention_bwd.py:0:21
	v_dual_mov_b32 v154, 0 :: v_dual_mov_b32 v155, 0
	.loc	1 103 21                        ; attention_bwd.py:103:21 @[ attention_bwd.py:253:40 ]
	s_and_b32 vcc_lo, exec_lo, s33
	s_wait_alu depctr_sa_sdst(0)
	s_cbranch_vccz .LBB0_146
.LBB0_108:
	s_and_b32 vcc_lo, exec_lo, s33
	s_wait_alu depctr_sa_sdst(0)
	s_cbranch_vccz .LBB0_147
.LBB0_109:
	.loc	1 0 21                          ; attention_bwd.py:0:21
	v_dual_mov_b32 v156, 0 :: v_dual_mov_b32 v157, 0
	.loc	1 103 21                        ; attention_bwd.py:103:21 @[ attention_bwd.py:253:40 ]
	s_and_b32 vcc_lo, exec_lo, s33
	s_wait_alu depctr_sa_sdst(0)
	s_cbranch_vccz .LBB0_148
.LBB0_110:
	s_and_b32 vcc_lo, exec_lo, s33
	s_wait_alu depctr_sa_sdst(0)
	s_cbranch_vccnz .LBB0_112
.LBB0_111:
	.loc	1 94 49 is_stmt 1               ; attention_bwd.py:94:49 @[ attention_bwd.py:253:40 ]
	s_lshl_b64 s[0:1], s[40:41], 1
	s_wait_alu depctr_sa_sdst(0)
	v_add_co_u32 v5, vcc_lo, v3, s0
	s_wait_alu depctr_va_vcc(0)
	v_add_co_ci_u32_e64 v6, null, s1, v4, vcc_lo
	.loc	1 103 21                        ; attention_bwd.py:103:21 @[ attention_bwd.py:253:40 ]
	global_load_u16 v156, v[5:6], off
.LBB0_112:
	.loc	1 0 21 is_stmt 0                ; attention_bwd.py:0:21
	s_wait_loadcnt 0x0
	v_lshl_add_u32 v5, v7, 2, 0
	v_dual_mov_b32 v158, 0 :: v_dual_mov_b32 v159, 0
	.loc	1 103 21                        ; attention_bwd.py:103:21 @[ attention_bwd.py:253:40 ]
	s_and_b32 vcc_lo, exec_lo, s33
	s_lshl_b32 s0, s2, 1
	s_wait_alu depctr_sa_sdst(0)
	s_cbranch_vccnz .LBB0_114
; %bb.113:
	.loc	1 94 49 is_stmt 1               ; attention_bwd.py:94:49 @[ attention_bwd.py:253:40 ]
	s_lshl_b64 s[4:5], s[10:11], 1
	s_wait_alu depctr_sa_sdst(0)
	v_add_co_u32 v6, vcc_lo, v3, s4
	s_wait_alu depctr_va_vcc(0)
	v_add_co_ci_u32_e64 v7, null, s5, v4, vcc_lo
	.loc	1 103 21                        ; attention_bwd.py:103:21 @[ attention_bwd.py:253:40 ]
	global_load_u16 v159, v[6:7], off
.LBB0_114:
	.loc	1 0 21 is_stmt 0                ; attention_bwd.py:0:21
	v_add_nc_u32_e32 v5, s0, v5
	.loc	1 103 21                        ; attention_bwd.py:103:21 @[ attention_bwd.py:253:40 ]
	s_and_b32 vcc_lo, exec_lo, s33
	s_wait_alu depctr_sa_sdst(0)
	s_cbranch_vccnz .LBB0_116
; %bb.115:
	.loc	1 94 49 is_stmt 1               ; attention_bwd.py:94:49 @[ attention_bwd.py:253:40 ]
	s_lshl_b64 s[0:1], s[12:13], 1
	s_wait_alu depctr_sa_sdst(0)
	v_add_co_u32 v3, vcc_lo, v3, s0
	s_wait_alu depctr_va_vcc(0)
	v_add_co_ci_u32_e64 v4, null, s1, v4, vcc_lo
	.loc	1 103 21                        ; attention_bwd.py:103:21 @[ attention_bwd.py:253:40 ]
	global_load_u16 v158, v[3:4], off
.LBB0_116:
	.loc	1 0 21 is_stmt 0                ; attention_bwd.py:0:21
	v_readlane_b32 s0, v252, 23
	v_readlane_b32 s1, v252, 24
	ds_load_2addr_stride64_b32 v[188:189], v5 offset1:1
	v_mov_b32_e32 v221, 0
	.loc	1 96 21 is_stmt 1               ; attention_bwd.py:96:21 @[ attention_bwd.py:253:40 ]
	s_wait_alu depctr_va_sdst(0)
	v_add_co_u32 v0, vcc_lo, s0, v0
	s_wait_alu depctr_va_vcc(0)
	v_add_co_ci_u32_e64 v1, null, s1, v1, vcc_lo
	.loc	1 101 25                        ; attention_bwd.py:101:25 @[ attention_bwd.py:253:40 ]
	v_readlane_b32 s0, v252, 25
	v_dual_mov_b32 v220, v221 :: v_dual_mov_b32 v219, v221
	.loc	1 113 23                        ; attention_bwd.py:113:23 @[ attention_bwd.py:253:40 ]
	global_load_b32 v0, v[0:1], off
	v_dual_mov_b32 v218, v221 :: v_dual_mov_b32 v217, v221
	v_dual_mov_b32 v216, v221 :: v_dual_mov_b32 v215, v221
	;; [unrolled: 1-line block ×27, first 2 shown]
	v_mov_b32_e32 v6, v221
	v_dual_mov_b32 v4, v221 :: v_dual_mov_b32 v3, v221
	.loc	1 101 25                        ; attention_bwd.py:101:25 @[ attention_bwd.py:253:40 ]
	s_and_not1_b32 vcc_lo, exec_lo, s0
	v_mov_b32_e32 v1, v221
	.loc	1 113 23                        ; attention_bwd.py:113:23 @[ attention_bwd.py:253:40 ]
	s_wait_storecnt 0x0
	s_wait_loadcnt_dscnt 0x0
	s_barrier_signal -1
	s_barrier_wait -1
	global_inv scope:SCOPE_SE
	ds_store_b32 v2, v0
	s_wait_loadcnt_dscnt 0x0
	s_barrier_signal -1
	v_mov_b32_e32 v2, v221
	v_mov_b32_e32 v0, v221
	s_barrier_wait -1
	global_inv scope:SCOPE_SE
	ds_load_2addr_stride64_b32 v[186:187], v5 offset1:1
	v_mov_b32_e32 v5, v221
	.loc	1 102 21                        ; attention_bwd.py:102:21 @[ attention_bwd.py:253:40 ]
	s_wait_loadcnt_dscnt 0x0
	s_barrier_signal -1
	s_barrier_wait -1
	global_inv scope:SCOPE_SE
	ds_store_b16 v234, v129
	ds_store_b16 v234, v128 offset:256
	ds_store_b16 v234, v131 offset:512
	;; [unrolled: 1-line block ×15, first 2 shown]
	.loc	1 103 21                        ; attention_bwd.py:103:21 @[ attention_bwd.py:253:40 ]
	ds_store_b16 v234, v145 offset:4096
	ds_store_b16 v234, v144 offset:4352
	;; [unrolled: 1-line block ×16, first 2 shown]
	.loc	1 101 25                        ; attention_bwd.py:101:25 @[ attention_bwd.py:253:40 ]
	s_wait_alu depctr_sa_sdst(0)
	s_cbranch_vccnz .LBB0_120
; %bb.117:                              ; %.lr.ph330
	.loc	1 0 25 is_stmt 0                ; attention_bwd.py:0:25
	s_clause 0x7                            ; 128-byte Folded Spill
	scratch_store_b128 off, v[171:174], off offset:884
	scratch_store_b128 off, v[175:178], off offset:900
	;; [unrolled: 1-line block ×8, first 2 shown]
	s_clause 0xa                            ; 176-byte Folded Reload
	scratch_load_b128 v[200:203], off, off offset:804
	scratch_load_b128 v[162:165], off, off offset:788
	;; [unrolled: 1-line block ×11, first 2 shown]
	v_readlane_b32 s0, v255, 19
	v_readlane_b32 s1, v255, 20
	.loc	1 101 25                        ; attention_bwd.py:101:25 @[ attention_bwd.py:253:40 ]
	s_lshl_b64 s[4:5], s[12:13], 1
	v_readlane_b32 s12, v251, 19
	v_readlane_b32 s13, v251, 20
	s_ashr_i32 s1, s0, 31
	s_lshl_b64 s[10:11], s[10:11], 1
	s_wait_alu depctr_sa_sdst(0)
	s_lshl_b64 s[0:1], s[0:1], 1
	v_readlane_b32 s2, v255, 18
	s_wait_alu depctr_sa_sdst(0)
	s_add_nc_u64 s[4:5], s[0:1], s[4:5]
	s_wait_alu depctr_sa_sdst(0)
	v_add_co_u32 v0, vcc_lo, s4, v64
	s_wait_alu depctr_va_vcc(0)
	v_add_co_ci_u32_e64 v1, null, s5, v65, vcc_lo
	s_add_nc_u64 s[4:5], s[0:1], s[10:11]
	v_add_co_u32 v185, vcc_lo, s12, v0
	s_wait_alu depctr_va_vcc(0)
	v_add_co_ci_u32_e64 v82, null, s13, v1, vcc_lo
	s_wait_alu depctr_sa_sdst(0)
	v_add_co_u32 v2, vcc_lo, s4, v64
	s_wait_alu depctr_va_vcc(0)
	v_add_co_ci_u32_e64 v3, null, s5, v65, vcc_lo
	s_lshl_b64 s[4:5], s[40:41], 1
	v_add_co_u32 v83, vcc_lo, s12, v2
	s_wait_alu depctr_sa_sdst(0)
	s_add_nc_u64 s[4:5], s[0:1], s[4:5]
	s_wait_alu depctr_va_vcc(0)
	v_add_co_ci_u32_e64 v84, null, s13, v3, vcc_lo
	s_wait_alu depctr_sa_sdst(0)
	v_add_co_u32 v4, vcc_lo, s4, v64
	s_wait_alu depctr_va_vcc(0)
	v_add_co_ci_u32_e64 v5, null, s5, v65, vcc_lo
	s_lshl_b64 s[4:5], s[38:39], 1
	v_add_co_u32 v166, vcc_lo, s12, v4
	s_wait_alu depctr_sa_sdst(0)
	s_add_nc_u64 s[4:5], s[0:1], s[4:5]
	;; [unrolled: 10-line block ×13, first 2 shown]
	s_wait_alu depctr_va_vcc(0)
	v_add_co_ci_u32_e64 v144, null, s13, v27, vcc_lo
	s_lshl_b64 s[10:11], s[6:7], 1
	s_wait_alu depctr_sa_sdst(0)
	v_add_co_u32 v28, vcc_lo, s4, v64
	s_wait_alu depctr_va_vcc(0)
	v_add_co_ci_u32_e64 v29, null, s5, v65, vcc_lo
	s_add_nc_u64 s[4:5], s[0:1], s[10:11]
	s_max_i32 s3, s2, 1
	s_wait_alu depctr_sa_sdst(0)
	v_add_co_u32 v30, vcc_lo, s4, v64
	s_wait_alu depctr_va_vcc(0)
	v_add_co_ci_u32_e64 v31, null, s5, v65, vcc_lo
	v_readlane_b32 s4, v250, 0
	v_readlane_b32 s6, v250, 2
	;; [unrolled: 1-line block ×4, first 2 shown]
	s_wait_alu depctr_va_sdst(0)
	s_delay_alu instid0(VALU_DEP_3)
	v_add_co_u32 v66, vcc_lo, s6, v0
	s_wait_alu depctr_va_vcc(0)
	v_add_co_ci_u32_e64 v67, null, s7, v1, vcc_lo
	v_add_co_u32 v68, vcc_lo, s6, v2
	s_wait_alu depctr_va_vcc(0)
	v_add_co_ci_u32_e64 v69, null, s7, v3, vcc_lo
	;; [unrolled: 3-line block ×15, first 2 shown]
	v_add_co_u32 v151, vcc_lo, s6, v28
	v_mov_b32_e32 v0, 0
	s_wait_alu depctr_va_vcc(0)
	v_add_co_ci_u32_e64 v152, null, s7, v29, vcc_lo
	v_add_co_u32 v17, vcc_lo, s12, v30
	s_wait_alu depctr_va_vcc(0)
	v_add_co_ci_u32_e64 v18, null, s13, v31, vcc_lo
	v_add_co_u32 v19, vcc_lo, s6, v30
	s_wait_alu depctr_va_vcc(0)
	v_add_co_ci_u32_e64 v20, null, s7, v31, vcc_lo
	v_dual_mov_b32 v1, v0 :: v_dual_mov_b32 v2, v0
	v_dual_mov_b32 v3, v0 :: v_dual_mov_b32 v4, v0
	;; [unrolled: 1-line block ×15, first 2 shown]
	v_mov_b32_e32 v55, v0
	s_clause 0x9                            ; 160-byte Folded Spill
	scratch_store_b128 off, v[8:11], off
	scratch_store_b128 off, v[12:15], off offset:16
	scratch_store_b128 off, v[8:11], off offset:32
	scratch_store_b128 off, v[12:15], off offset:48
	scratch_store_b128 off, v[8:11], off offset:64
	scratch_store_b128 off, v[12:15], off offset:80
	scratch_store_b128 off, v[8:11], off offset:96
	scratch_store_b128 off, v[12:15], off offset:112
	scratch_store_b128 off, v[8:11], off offset:128
	scratch_store_b128 off, v[12:15], off offset:144
.LBB0_118:                              ; =>This Inner Loop Header: Depth=1
	.loc	1 120 19 is_stmt 1              ; attention_bwd.py:120:19 @[ attention_bwd.py:253:40 ]
	v_add_co_u32 v64, vcc_lo, v19, s8
	s_wait_alu depctr_va_vcc(0)
	v_add_co_ci_u32_e64 v65, null, s9, v20, vcc_lo
	s_clause 0x1c                           ; 116-byte Folded Spill
	scratch_store_b32 off, v146, off offset:660
	scratch_store_b32 off, v79, off offset:652
	;; [unrolled: 1-line block ×29, first 2 shown]
	v_dual_mov_b32 v126, v82 :: v_dual_mov_b32 v127, v83
	.loc	1 102 21                        ; attention_bwd.py:102:21 @[ attention_bwd.py:253:40 ]
	global_load_u16 v21, v[64:65], off
	.loc	1 120 19                        ; attention_bwd.py:120:19 @[ attention_bwd.py:253:40 ]
	v_add_co_u32 v64, vcc_lo, v151, s8
	s_wait_alu depctr_va_vcc(0)
	v_add_co_ci_u32_e64 v65, null, s9, v152, vcc_lo
	.loc	1 101 25                        ; attention_bwd.py:101:25 @[ attention_bwd.py:253:40 ]
	s_add_co_i32 s3, s3, -1
	v_mov_b32_e32 v221, v184
	s_wait_alu depctr_sa_sdst(0)
	s_cmp_lg_u32 s3, 0
	.loc	1 102 21                        ; attention_bwd.py:102:21 @[ attention_bwd.py:253:40 ]
	global_load_u16 v22, v[64:65], off
	.loc	1 120 19                        ; attention_bwd.py:120:19 @[ attention_bwd.py:253:40 ]
	v_add_co_u32 v64, vcc_lo, v160, s8
	s_wait_alu depctr_va_vcc(0)
	v_add_co_ci_u32_e64 v65, null, s9, v148, vcc_lo
	v_dual_mov_b32 v220, v183 :: v_dual_mov_b32 v219, v182
	v_mov_b32_e32 v218, v181
	.loc	1 102 21                        ; attention_bwd.py:102:21 @[ attention_bwd.py:253:40 ]
	global_load_u16 v23, v[64:65], off
	.loc	1 120 19                        ; attention_bwd.py:120:19 @[ attention_bwd.py:253:40 ]
	v_add_co_u32 v64, vcc_lo, v161, s8
	s_wait_alu depctr_va_vcc(0)
	v_add_co_ci_u32_e64 v65, null, s9, v159, vcc_lo
	v_mov_b32_e32 v184, v120
	.loc	1 102 21                        ; attention_bwd.py:102:21 @[ attention_bwd.py:253:40 ]
	global_load_u16 v8, v[64:65], off
	.loc	1 120 19                        ; attention_bwd.py:120:19 @[ attention_bwd.py:253:40 ]
	v_add_co_u32 v64, vcc_lo, v232, s8
	s_wait_alu depctr_va_vcc(0)
	v_add_co_ci_u32_e64 v65, null, s9, v158, vcc_lo
	s_wait_loadcnt 0x0
	scratch_store_b32 off, v8, off offset:668 ; 4-byte Folded Spill
	.loc	1 102 21                        ; attention_bwd.py:102:21 @[ attention_bwd.py:253:40 ]
	global_load_u16 v8, v[64:65], off
	.loc	1 120 19                        ; attention_bwd.py:120:19 @[ attention_bwd.py:253:40 ]
	v_add_co_u32 v64, vcc_lo, v249, s8
	s_wait_alu depctr_va_vcc(0)
	v_add_co_ci_u32_e64 v65, null, s9, v217, vcc_lo
	s_wait_loadcnt 0x0
	scratch_store_b32 off, v8, off offset:676 ; 4-byte Folded Spill
	;; [unrolled: 8-line block ×12, first 2 shown]
	.loc	1 102 21                        ; attention_bwd.py:102:21 @[ attention_bwd.py:253:40 ]
	global_load_u16 v8, v[64:65], off
	.loc	1 117 25                        ; attention_bwd.py:117:25 @[ attention_bwd.py:253:40 ]
	s_wait_loadcnt 0x0
	scratch_store_b32 off, v8, off offset:720 ; 4-byte Folded Spill
	v_mov_b32_e32 v8, v152
	v_dual_mov_b32 v152, v151 :: v_dual_mov_b32 v151, v150
	v_dual_mov_b32 v150, v149 :: v_dual_mov_b32 v149, v148
	v_mov_b32_e32 v148, v160
	v_dual_mov_b32 v160, v159 :: v_dual_mov_b32 v159, v161
	v_mov_b32_e32 v161, v125
	v_mov_b32_e32 v125, v84
	s_wait_storecnt_dscnt 0x0
	s_barrier_signal -1
	s_barrier_wait -1
	global_inv scope:SCOPE_SE
	s_clause 0x6                            ; 112-byte Folded Reload
	scratch_load_b128 v[194:197], off, off offset:756
	scratch_load_b128 v[40:43], off, off th:TH_LOAD_LU
	scratch_load_b128 v[44:47], off, off offset:16 th:TH_LOAD_LU
	scratch_load_b128 v[32:35], off, off offset:32 th:TH_LOAD_LU
	;; [unrolled: 1-line block ×5, first 2 shown]
	.loc	1 102 21                        ; attention_bwd.py:102:21 @[ attention_bwd.py:253:40 ]
	ds_load_u16 v129, v225 offset:128
	ds_load_u16 v128, v225
	ds_load_u16 v130, v225 offset:256
	ds_load_u16 v131, v225 offset:384
	;; [unrolled: 1-line block ×11, first 2 shown]
	.loc	1 103 21                        ; attention_bwd.py:103:21 @[ attention_bwd.py:253:40 ]
	ds_load_u16 v144, v225 offset:4096
	ds_load_u16 v146, v225 offset:4352
	.loc	1 102 21                        ; attention_bwd.py:102:21 @[ attention_bwd.py:253:40 ]
	ds_load_u16 v139, v225 offset:2432
	ds_load_u16 v140, v225 offset:3072
	;; [unrolled: 1-line block ×7, first 2 shown]
	s_wait_dscnt 0x4
	ds_load_u16_d16_hi v179, v225 offset:2400
	ds_load_u16_d16_hi v134, v225 offset:1344
	.loc	1 103 21                        ; attention_bwd.py:103:21 @[ attention_bwd.py:253:40 ]
	ds_load_u16 v68, v225 offset:4128
	s_wait_dscnt 0x0
	ds_load_u16_d16_hi v68, v225 offset:4192
	.loc	1 102 21                        ; attention_bwd.py:102:21 @[ attention_bwd.py:253:40 ]
	ds_load_u16_d16_hi v140, v225 offset:3136
	ds_load_u16_d16_hi v133, v225 offset:1216
	ds_load_u16_d16_hi v64, v225 offset:1120
	ds_load_u16 v75, v225 offset:416
	ds_load_u16 v72, v225 offset:32
	ds_load_u16_d16_hi v129, v225 offset:192
	ds_load_u16_d16_hi v128, v225 offset:64
	ds_load_u16 v74, v225 offset:288
	ds_load_u16 v73, v225 offset:160
	ds_load_u16_d16_hi v135, v225 offset:1472
	ds_load_u16 v177, v225 offset:2080
	ds_load_u16 v67, v225 offset:1440
	;; [unrolled: 1-line block ×4, first 2 shown]
	ds_load_u16_d16_hi v141, v225 offset:3264
	ds_load_u16 v79, v225 offset:3488
	ds_load_u16 v78, v225 offset:3360
	;; [unrolled: 1-line block ×4, first 2 shown]
	ds_load_u16_d16_hi v132, v225 offset:1088
	ds_load_u16_d16_hi v130, v225 offset:320
	;; [unrolled: 1-line block ×3, first 2 shown]
	s_wait_dscnt 0x12
	ds_load_u16_d16_hi v75, v225 offset:480
	ds_load_u16_d16_hi v138, v225 offset:2368
	ds_load_u16_d16_hi v139, v225 offset:2496
	ds_load_u16_d16_hi v136, v225 offset:2112
	ds_load_u16_d16_hi v137, v225 offset:2240
	ds_load_u16_d16_hi v178, v225 offset:2272
	ds_load_u16_d16_hi v142, v225 offset:3392
	ds_load_u16_d16_hi v143, v225 offset:3520
	.loc	1 103 21                        ; attention_bwd.py:103:21 @[ attention_bwd.py:253:40 ]
	ds_load_u16 v69, v225 offset:4256
	.loc	1 102 21                        ; attention_bwd.py:102:21 @[ attention_bwd.py:253:40 ]
	s_wait_dscnt 0xf
	ds_load_u16_d16_hi v79, v225 offset:3552
	ds_load_u16_d16_hi v72, v225 offset:96
	;; [unrolled: 1-line block ×9, first 2 shown]
	s_wait_dscnt 0x15
	ds_load_u16_d16_hi v76, v225 offset:3168
	ds_load_u16_d16_hi v78, v225 offset:3424
	;; [unrolled: 1-line block ×3, first 2 shown]
	.loc	1 104 23                        ; attention_bwd.py:104:23 @[ attention_bwd.py:253:40 ]
	s_wait_dscnt 0x15
	v_wmma_f32_16x16x16_f16 v[169:176], v[128:131], v[200:203], 0
	s_delay_alu instid0(VALU_DEP_1) | instskip(SKIP_1) | instid1(VALU_DEP_1)
	v_wmma_f32_16x16x16_f16 v[169:176], v[132:135], v[162:165], v[169:176]
	s_wait_dscnt 0x10
	v_wmma_f32_16x16x16_f16 v[169:176], v[136:139], v[235:238], v[169:176]
	s_wait_loadcnt_dscnt 0x60d
	s_delay_alu instid0(VALU_DEP_1) | instskip(NEXT) | instid1(VALU_DEP_1)
	v_wmma_f32_16x16x16_f16 v[169:176], v[140:143], v[194:197], v[169:176]
	.loc	1 105 30                        ; attention_bwd.py:105:30 @[ attention_bwd.py:253:40 ]
	v_sub_f32_e32 v88, v169, v188
	s_delay_alu instid0(VALU_DEP_2) | instskip(NEXT) | instid1(VALU_DEP_3)
	v_sub_f32_e32 v89, v170, v188
	v_sub_f32_e32 v90, v171, v188
	s_delay_alu instid0(VALU_DEP_4)
	v_sub_f32_e32 v91, v172, v188
	v_sub_f32_e32 v92, v173, v188
	;; [unrolled: 1-line block ×5, first 2 shown]
	.loc	1 104 23                        ; attention_bwd.py:104:23 @[ attention_bwd.py:253:40 ]
	v_wmma_f32_16x16x16_f16 v[169:176], v[128:131], v[227:230], 0
	.loc	1 105 25                        ; attention_bwd.py:105:25 @[ attention_bwd.py:253:40 ]
	v_exp_f32_e32 v88, v88
	v_exp_f32_e32 v90, v90
	s_delay_alu instid0(VALU_DEP_1) | instskip(NEXT) | instid1(VALU_DEP_1)
	.loc	1 104 23                        ; attention_bwd.py:104:23 @[ attention_bwd.py:253:40 ]
	v_wmma_f32_16x16x16_f16 v[169:176], v[132:135], v[204:207], v[169:176]
	v_wmma_f32_16x16x16_f16 v[169:176], v[136:139], v[209:212], v[169:176]
	s_delay_alu instid0(VALU_DEP_1) | instskip(NEXT) | instid1(VALU_DEP_1)
	v_wmma_f32_16x16x16_f16 v[169:176], v[140:143], v[218:221], v[169:176]
	.loc	1 105 30                        ; attention_bwd.py:105:30 @[ attention_bwd.py:253:40 ]
	v_sub_f32_e32 v181, v169, v189
	s_delay_alu instid0(VALU_DEP_2) | instskip(NEXT) | instid1(VALU_DEP_3)
	v_sub_f32_e32 v182, v170, v189
	v_sub_f32_e32 v183, v171, v189
	s_delay_alu instid0(VALU_DEP_4)
	v_sub_f32_e32 v100, v172, v189
	v_sub_f32_e32 v102, v174, v189
	;; [unrolled: 1-line block ×3, first 2 shown]
	.loc	1 103 21                        ; attention_bwd.py:103:21 @[ attention_bwd.py:253:40 ]
	ds_load_u16 v145, v225 offset:4224
	ds_load_u16 v147, v225 offset:4480
	;; [unrolled: 1-line block ×15, first 2 shown]
	ds_load_u16_d16_hi v144, v225 offset:4160
	s_wait_dscnt 0xf
	ds_load_u16_d16_hi v145, v225 offset:4288
	s_wait_dscnt 0x3
	ds_load_u16_d16_hi v175, v225 offset:5472
	ds_load_u16_d16_hi v146, v225 offset:4416
	ds_load_u16 v80, v225 offset:7200
	.loc	1 105 30                        ; attention_bwd.py:105:30 @[ attention_bwd.py:253:40 ]
	v_sub_f32_e32 v101, v173, v189
	v_sub_f32_e32 v104, v176, v189
	.loc	1 103 21                        ; attention_bwd.py:103:21 @[ attention_bwd.py:253:40 ]
	s_wait_dscnt 0x0
	ds_load_u16_d16_hi v80, v225 offset:7264
	ds_load_u16 v141, v225 offset:6272
	ds_load_u16_d16_hi v140, v225 offset:6208
	ds_load_u16_d16_hi v147, v225 offset:4544
	ds_load_u16 v173, v225 offset:5152
	ds_load_u16 v71, v225 offset:4512
	;; [unrolled: 1-line block ×3, first 2 shown]
	ds_load_u16_d16_hi v136, v225 offset:5184
	ds_load_u16_d16_hi v137, v225 offset:5312
	ds_load_u16_d16_hi v138, v225 offset:5440
	ds_load_u16_d16_hi v139, v225 offset:5568
	ds_load_u16 v176, v225 offset:5536
	ds_load_u16 v87, v225 offset:6560
	;; [unrolled: 1-line block ×3, first 2 shown]
	ds_load_u16_d16_hi v142, v225 offset:6464
	ds_load_u16_d16_hi v143, v225 offset:6592
	;; [unrolled: 1-line block ×4, first 2 shown]
	ds_load_u16 v81, v225 offset:7328
	ds_load_u16_d16_hi v171, v225 offset:7488
	ds_load_u16 v82, v225 offset:7456
	ds_load_u16_d16_hi v172, v225 offset:7616
	;; [unrolled: 2-line block ×3, first 2 shown]
	ds_load_u16 v86, v225 offset:6432
	ds_load_u16 v85, v225 offset:6304
	s_wait_dscnt 0x18
	ds_load_u16_d16_hi v141, v225 offset:6336
	ds_load_u16_d16_hi v69, v225 offset:4320
	s_wait_dscnt 0x15
	ds_load_u16_d16_hi v70, v225 offset:4448
	ds_load_u16_d16_hi v173, v225 offset:5216
	;; [unrolled: 1-line block ×3, first 2 shown]
	s_wait_dscnt 0x13
	ds_load_u16_d16_hi v176, v225 offset:5600
	s_wait_dscnt 0x13
	ds_load_u16_d16_hi v87, v225 offset:6624
	;; [unrolled: 2-line block ×3, first 2 shown]
	.loc	1 112 24                        ; attention_bwd.py:112:24 @[ attention_bwd.py:253:40 ]
	v_wmma_f32_16x16x16_f16 v[128:135], v[144:147], v[243:246], 0
	.loc	1 105 25                        ; attention_bwd.py:105:25 @[ attention_bwd.py:253:40 ]
	v_exp_f32_e32 v101, v101
	v_exp_f32_e32 v100, v100
	.loc	1 103 21                        ; attention_bwd.py:103:21 @[ attention_bwd.py:253:40 ]
	s_wait_dscnt 0x9
	ds_load_u16_d16_hi v86, v225 offset:6496
	s_wait_dscnt 0x9
	ds_load_u16_d16_hi v85, v225 offset:6368
	.loc	1 112 24                        ; attention_bwd.py:112:24 @[ attention_bwd.py:253:40 ]
	v_wmma_f32_16x16x16_f16 v[128:135], v[136:139], v[213:216], v[128:135]
	.loc	1 103 21                        ; attention_bwd.py:103:21 @[ attention_bwd.py:253:40 ]
	ds_load_u16_d16_hi v81, v225 offset:7392
	ds_load_u16_d16_hi v82, v225 offset:7520
	;; [unrolled: 1-line block ×3, first 2 shown]
	.loc	1 112 24                        ; attention_bwd.py:112:24 @[ attention_bwd.py:253:40 ]
	s_wait_dscnt 0xc
	v_wmma_f32_16x16x16_f16 v[128:135], v[140:143], v[153:156], v[128:135]
	s_delay_alu instid0(VALU_DEP_1) | instskip(SKIP_3) | instid1(VALU_DEP_4)
	v_wmma_f32_16x16x16_f16 v[128:135], v[169:172], v[116:119], v[128:135]
	v_mov_b32_e32 v120, v119
	v_mov_b32_e32 v119, v118
	;; [unrolled: 1-line block ×3, first 2 shown]
	v_dual_mov_b32 v117, v116 :: v_dual_sub_f32 v98, v130, v186
	.loc	1 113 23                        ; attention_bwd.py:113:23 @[ attention_bwd.py:253:40 ]
	v_sub_f32_e32 v97, v129, v186
	v_sub_f32_e32 v105, v132, v186
	;; [unrolled: 1-line block ×7, first 2 shown]
	.loc	1 112 24                        ; attention_bwd.py:112:24 @[ attention_bwd.py:253:40 ]
	v_wmma_f32_16x16x16_f16 v[128:135], v[144:147], v[239:242], 0
	s_delay_alu instid0(VALU_DEP_1) | instskip(NEXT) | instid1(VALU_DEP_1)
	v_wmma_f32_16x16x16_f16 v[128:135], v[136:139], v[56:59], v[128:135]
	v_wmma_f32_16x16x16_f16 v[128:135], v[140:143], v[60:63], v[128:135]
	.loc	1 117 25                        ; attention_bwd.py:117:25 @[ attention_bwd.py:253:40 ]
	ds_load_b128 v[140:143], v226 offset:1024
	ds_load_b128 v[144:147], v226 offset:1056
	.loc	1 112 24                        ; attention_bwd.py:112:24 @[ attention_bwd.py:253:40 ]
	v_wmma_f32_16x16x16_f16 v[128:135], v[169:172], v[121:124], v[128:135]
	s_delay_alu instid0(VALU_DEP_1) | instskip(SKIP_2) | instid1(VALU_DEP_3)
	.loc	1 113 23                        ; attention_bwd.py:113:23 @[ attention_bwd.py:253:40 ]
	v_sub_f32_e32 v109, v128, v187
	.loc	1 114 19                        ; attention_bwd.py:114:19 @[ attention_bwd.py:253:40 ]
	v_fma_mixlo_f16 v128, v88, v96, 0
	.loc	1 105 25                        ; attention_bwd.py:105:25 @[ attention_bwd.py:253:40 ]
	v_exp_f32_e32 v88, v92
	.loc	1 113 23                        ; attention_bwd.py:113:23 @[ attention_bwd.py:253:40 ]
	v_sub_f32_e32 v111, v130, v187
	v_sub_f32_e32 v110, v129, v187
	v_sub_f32_e32 v112, v131, v187
	.loc	1 114 19                        ; attention_bwd.py:114:19 @[ attention_bwd.py:253:40 ]
	v_fma_mixlo_f16 v129, v90, v98, 0
	.loc	1 113 23                        ; attention_bwd.py:113:23 @[ attention_bwd.py:253:40 ]
	v_sub_f32_e32 v113, v132, v187
	v_sub_f32_e32 v114, v133, v187
	v_sub_f32_e32 v115, v134, v187
	v_sub_f32_e32 v116, v135, v187
	.loc	1 117 25                        ; attention_bwd.py:117:25 @[ attention_bwd.py:253:40 ]
	ds_load_b128 v[132:135], v226
	ds_load_b128 v[136:139], v226 offset:32
	.loc	1 114 19                        ; attention_bwd.py:114:19 @[ attention_bwd.py:253:40 ]
	v_fma_mixlo_f16 v130, v88, v105, 0
	.loc	1 105 25                        ; attention_bwd.py:105:25 @[ attention_bwd.py:253:40 ]
	v_exp_f32_e32 v88, v94
	v_exp_f32_e32 v105, v181
	s_delay_alu instid0(TRANS32_DEP_2) | instskip(SKIP_1) | instid1(TRANS32_DEP_1)
	.loc	1 114 19                        ; attention_bwd.py:114:19 @[ attention_bwd.py:253:40 ]
	v_fma_mixlo_f16 v131, v88, v107, 0
	.loc	1 105 25                        ; attention_bwd.py:105:25 @[ attention_bwd.py:253:40 ]
	v_exp_f32_e32 v88, v95
	.loc	1 117 25                        ; attention_bwd.py:117:25 @[ attention_bwd.py:253:40 ]
	v_fma_mixhi_f16 v131, v88, v108, 0
	.loc	1 105 25                        ; attention_bwd.py:105:25 @[ attention_bwd.py:253:40 ]
	v_exp_f32_e32 v88, v93
	s_delay_alu instid0(TRANS32_DEP_1) | instskip(SKIP_2) | instid1(TRANS32_DEP_2)
	.loc	1 117 25                        ; attention_bwd.py:117:25 @[ attention_bwd.py:253:40 ]
	v_fma_mixhi_f16 v130, v88, v106, 0
	.loc	1 105 25                        ; attention_bwd.py:105:25 @[ attention_bwd.py:253:40 ]
	v_exp_f32_e32 v88, v91
	v_exp_f32_e32 v106, v183
	.loc	1 117 25                        ; attention_bwd.py:117:25 @[ attention_bwd.py:253:40 ]
	v_fma_mixhi_f16 v129, v88, v99, 0
	.loc	1 105 25                        ; attention_bwd.py:105:25 @[ attention_bwd.py:253:40 ]
	v_exp_f32_e32 v88, v89
	s_delay_alu instid0(TRANS32_DEP_1)
	.loc	1 117 25                        ; attention_bwd.py:117:25 @[ attention_bwd.py:253:40 ]
	v_fma_mixhi_f16 v128, v88, v97, 0
	ds_load_b128 v[169:172], v226 offset:2048
	ds_load_b128 v[88:91], v226 offset:2080
	;; [unrolled: 1-line block ×4, first 2 shown]
	s_wait_dscnt 0x5
	v_wmma_f32_16x16x16_f16 v[0:7], v[132:135], v[128:131], v[0:7]
	s_wait_loadcnt 0x4
	v_wmma_f32_16x16x16_f16 v[40:47], v[140:143], v[128:131], v[40:47]
	s_wait_loadcnt_dscnt 0x203
	v_wmma_f32_16x16x16_f16 v[32:39], v[169:172], v[128:131], v[32:39]
	s_wait_loadcnt_dscnt 0x1
	v_wmma_f32_16x16x16_f16 v[9:16], v[92:95], v[128:131], v[9:16]
	.loc	1 114 19                        ; attention_bwd.py:114:19 @[ attention_bwd.py:253:40 ]
	v_fma_mixlo_f16 v130, v101, v113, 0
	.loc	1 105 25                        ; attention_bwd.py:105:25 @[ attention_bwd.py:253:40 ]
	v_exp_f32_e32 v101, v103
	.loc	1 114 19                        ; attention_bwd.py:114:19 @[ attention_bwd.py:253:40 ]
	v_fma_mixlo_f16 v129, v106, v111, 0
	v_fma_mixlo_f16 v128, v105, v109, 0
	s_delay_alu instid0(TRANS32_DEP_1) | instskip(SKIP_1) | instid1(TRANS32_DEP_1)
	v_fma_mixlo_f16 v131, v101, v115, 0
	.loc	1 105 25                        ; attention_bwd.py:105:25 @[ attention_bwd.py:253:40 ]
	v_exp_f32_e32 v101, v104
	.loc	1 117 25                        ; attention_bwd.py:117:25 @[ attention_bwd.py:253:40 ]
	v_fma_mixhi_f16 v131, v101, v116, 0
	.loc	1 105 25                        ; attention_bwd.py:105:25 @[ attention_bwd.py:253:40 ]
	v_exp_f32_e32 v101, v102
	s_delay_alu instid0(TRANS32_DEP_1)
	.loc	1 117 25                        ; attention_bwd.py:117:25 @[ attention_bwd.py:253:40 ]
	v_fma_mixhi_f16 v130, v101, v114, 0
	v_mov_b32_e32 v101, v194
	v_fma_mixhi_f16 v129, v100, v112, 0
	.loc	1 105 25                        ; attention_bwd.py:105:25 @[ attention_bwd.py:253:40 ]
	v_exp_f32_e32 v100, v182
	v_dual_mov_b32 v102, v195 :: v_dual_mov_b32 v103, v196
	v_mov_b32_e32 v104, v197
	s_clause 0x1                            ; 32-byte Folded Reload
	scratch_load_b128 v[190:193], off, off offset:96 th:TH_LOAD_LU
	scratch_load_b128 v[194:197], off, off offset:112 th:TH_LOAD_LU
	.loc	1 117 25                        ; attention_bwd.py:117:25 @[ attention_bwd.py:253:40 ]
	v_fma_mixhi_f16 v128, v100, v110, 0
	s_clause 0x1                            ; 32-byte Folded Reload
	scratch_load_b128 v[108:111], off, off offset:128 th:TH_LOAD_LU
	scratch_load_b128 v[112:115], off, off offset:144 th:TH_LOAD_LU
	v_wmma_f32_16x16x16_f16 v[24:31], v[169:172], v[128:131], v[24:31]
	v_wmma_f32_16x16x16_f16 v[48:55], v[92:95], v[128:131], v[48:55]
	s_wait_loadcnt 0x2
	v_wmma_f32_16x16x16_f16 v[190:197], v[132:135], v[128:131], v[190:197]
	s_wait_loadcnt 0x0
	v_wmma_f32_16x16x16_f16 v[108:115], v[140:143], v[128:131], v[108:115]
	.loc	1 104 23                        ; attention_bwd.py:104:23 @[ attention_bwd.py:253:40 ]
	v_wmma_f32_16x16x16_f16 v[128:135], v[72:75], v[200:203], 0
	s_clause 0x3                            ; 16-byte Folded Reload
	scratch_load_b32 v143, off, off offset:580 th:TH_LOAD_LU
	scratch_load_b32 v142, off, off offset:576 th:TH_LOAD_LU
	;; [unrolled: 1-line block ×4, first 2 shown]
	v_wmma_f32_16x16x16_f16 v[128:135], v[64:67], v[162:165], v[128:135]
	s_delay_alu instid0(VALU_DEP_1) | instskip(NEXT) | instid1(VALU_DEP_1)
	v_wmma_f32_16x16x16_f16 v[128:135], v[177:180], v[235:238], v[128:135]
	v_wmma_f32_16x16x16_f16 v[128:135], v[76:79], v[101:104], v[128:135]
	s_delay_alu instid0(VALU_DEP_1) | instskip(SKIP_1) | instid1(VALU_DEP_3)
	v_dual_mov_b32 v116, v117 :: v_dual_sub_f32 v95, v131, v188
	v_mov_b32_e32 v117, v118
	v_dual_mov_b32 v118, v119 :: v_dual_sub_f32 v93, v129, v188
	s_delay_alu instid0(VALU_DEP_4)
	.loc	1 105 30                        ; attention_bwd.py:105:30 @[ attention_bwd.py:253:40 ]
	v_sub_f32_e32 v92, v128, v188
	v_sub_f32_e32 v94, v130, v188
	;; [unrolled: 1-line block ×6, first 2 shown]
	.loc	1 104 23                        ; attention_bwd.py:104:23 @[ attention_bwd.py:253:40 ]
	v_wmma_f32_16x16x16_f16 v[128:135], v[72:75], v[227:230], 0
	v_dual_mov_b32 v119, v120 :: v_dual_mov_b32 v120, v184
	v_mov_b32_e32 v181, v218
	s_delay_alu instid0(VALU_DEP_3) | instskip(SKIP_2) | instid1(VALU_DEP_3)
	v_wmma_f32_16x16x16_f16 v[128:135], v[64:67], v[204:207], v[128:135]
	v_mov_b32_e32 v184, v221
	v_dual_mov_b32 v182, v219 :: v_dual_mov_b32 v183, v220
	v_wmma_f32_16x16x16_f16 v[128:135], v[177:180], v[209:212], v[128:135]
	s_delay_alu instid0(VALU_DEP_1) | instskip(NEXT) | instid1(VALU_DEP_1)
	v_wmma_f32_16x16x16_f16 v[128:135], v[76:79], v[218:221], v[128:135]
	.loc	1 105 30                        ; attention_bwd.py:105:30 @[ attention_bwd.py:253:40 ]
	v_sub_f32_e32 v72, v128, v189
	s_delay_alu instid0(VALU_DEP_2) | instskip(NEXT) | instid1(VALU_DEP_3)
	v_sub_f32_e32 v73, v129, v189
	v_sub_f32_e32 v74, v130, v189
	s_delay_alu instid0(VALU_DEP_4)
	v_sub_f32_e32 v75, v131, v189
	v_sub_f32_e32 v76, v132, v189
	;; [unrolled: 1-line block ×5, first 2 shown]
	.loc	1 112 24                        ; attention_bwd.py:112:24 @[ attention_bwd.py:253:40 ]
	v_wmma_f32_16x16x16_f16 v[128:135], v[68:71], v[243:246], 0
	s_delay_alu instid0(VALU_DEP_1) | instskip(NEXT) | instid1(VALU_DEP_1)
	v_wmma_f32_16x16x16_f16 v[128:135], v[173:176], v[213:216], v[128:135]
	v_wmma_f32_16x16x16_f16 v[128:135], v[84:87], v[153:156], v[128:135]
	s_delay_alu instid0(VALU_DEP_1) | instskip(NEXT) | instid1(VALU_DEP_1)
	v_wmma_f32_16x16x16_f16 v[128:135], v[80:83], v[116:119], v[128:135]
	.loc	1 113 23                        ; attention_bwd.py:113:23 @[ attention_bwd.py:253:40 ]
	v_sub_f32_e32 v64, v128, v186
	s_delay_alu instid0(VALU_DEP_2) | instskip(NEXT) | instid1(VALU_DEP_3)
	v_sub_f32_e32 v104, v129, v186
	v_sub_f32_e32 v65, v130, v186
	s_delay_alu instid0(VALU_DEP_4)
	v_sub_f32_e32 v105, v131, v186
	v_sub_f32_e32 v66, v132, v186
	;; [unrolled: 1-line block ×5, first 2 shown]
	.loc	1 112 24                        ; attention_bwd.py:112:24 @[ attention_bwd.py:253:40 ]
	v_wmma_f32_16x16x16_f16 v[128:135], v[68:71], v[239:242], 0
	s_delay_alu instid0(VALU_DEP_1) | instskip(NEXT) | instid1(VALU_DEP_1)
	v_wmma_f32_16x16x16_f16 v[128:135], v[173:176], v[56:59], v[128:135]
	v_wmma_f32_16x16x16_f16 v[128:135], v[84:87], v[60:63], v[128:135]
	.loc	1 105 25                        ; attention_bwd.py:105:25 @[ attention_bwd.py:253:40 ]
	v_exp_f32_e32 v84, v92
	v_exp_f32_e32 v85, v94
	s_delay_alu instid0(VALU_DEP_1) | instskip(NEXT) | instid1(VALU_DEP_1)
	.loc	1 112 24                        ; attention_bwd.py:112:24 @[ attention_bwd.py:253:40 ]
	v_wmma_f32_16x16x16_f16 v[128:135], v[80:83], v[121:124], v[128:135]
	.loc	1 113 23                        ; attention_bwd.py:113:23 @[ attention_bwd.py:253:40 ]
	v_sub_f32_e32 v69, v129, v187
	s_delay_alu instid0(TRANS32_DEP_2) | instskip(SKIP_1) | instid1(VALU_DEP_3)
	.loc	1 114 19                        ; attention_bwd.py:114:19 @[ attention_bwd.py:253:40 ]
	v_fma_mixlo_f16 v64, v84, v64, 0
	.loc	1 105 25                        ; attention_bwd.py:105:25 @[ attention_bwd.py:253:40 ]
	v_exp_f32_e32 v84, v100
	.loc	1 113 23                        ; attention_bwd.py:113:23 @[ attention_bwd.py:253:40 ]
	v_sub_f32_e32 v71, v131, v187
	s_delay_alu instid0(TRANS32_DEP_2)
	.loc	1 114 19                        ; attention_bwd.py:114:19 @[ attention_bwd.py:253:40 ]
	v_fma_mixlo_f16 v65, v85, v65, 0
	.loc	1 113 23                        ; attention_bwd.py:113:23 @[ attention_bwd.py:253:40 ]
	v_sub_f32_e32 v68, v128, v187
	v_sub_f32_e32 v82, v134, v187
	;; [unrolled: 1-line block ×6, first 2 shown]
	s_clause 0x6                            ; 28-byte Folded Reload
	scratch_load_b32 v128, off, off offset:160 th:TH_LOAD_LU
	scratch_load_b32 v129, off, off offset:192 th:TH_LOAD_LU
	scratch_load_b32 v130, off, off offset:224 th:TH_LOAD_LU
	scratch_load_b32 v131, off, off offset:256 th:TH_LOAD_LU
	scratch_load_b32 v132, off, off offset:288 th:TH_LOAD_LU
	scratch_load_b32 v134, off, off offset:320 th:TH_LOAD_LU
	scratch_load_b32 v135, off, off offset:352 th:TH_LOAD_LU
	.loc	1 114 19                        ; attention_bwd.py:114:19 @[ attention_bwd.py:253:40 ]
	v_fma_mixlo_f16 v66, v84, v66, 0
	.loc	1 105 25                        ; attention_bwd.py:105:25 @[ attention_bwd.py:253:40 ]
	v_exp_f32_e32 v84, v102
	s_delay_alu instid0(TRANS32_DEP_1) | instskip(SKIP_1) | instid1(TRANS32_DEP_1)
	.loc	1 114 19                        ; attention_bwd.py:114:19 @[ attention_bwd.py:253:40 ]
	v_fma_mixlo_f16 v67, v84, v67, 0
	.loc	1 105 25                        ; attention_bwd.py:105:25 @[ attention_bwd.py:253:40 ]
	v_exp_f32_e32 v84, v103
	.loc	1 117 25                        ; attention_bwd.py:117:25 @[ attention_bwd.py:253:40 ]
	v_fma_mixhi_f16 v67, v84, v107, 0
	.loc	1 105 25                        ; attention_bwd.py:105:25 @[ attention_bwd.py:253:40 ]
	v_exp_f32_e32 v84, v101
	s_delay_alu instid0(TRANS32_DEP_1) | instskip(SKIP_1) | instid1(TRANS32_DEP_1)
	.loc	1 117 25                        ; attention_bwd.py:117:25 @[ attention_bwd.py:253:40 ]
	v_fma_mixhi_f16 v66, v84, v106, 0
	.loc	1 105 25                        ; attention_bwd.py:105:25 @[ attention_bwd.py:253:40 ]
	v_exp_f32_e32 v84, v95
	.loc	1 117 25                        ; attention_bwd.py:117:25 @[ attention_bwd.py:253:40 ]
	v_fma_mixhi_f16 v65, v84, v105, 0
	.loc	1 105 25                        ; attention_bwd.py:105:25 @[ attention_bwd.py:253:40 ]
	v_exp_f32_e32 v84, v93
	s_delay_alu instid0(TRANS32_DEP_1) | instskip(SKIP_3) | instid1(VALU_DEP_4)
	.loc	1 117 25                        ; attention_bwd.py:117:25 @[ attention_bwd.py:253:40 ]
	v_fma_mixhi_f16 v64, v84, v104, 0
	v_dual_mov_b32 v84, v125 :: v_dual_mov_b32 v125, v161
	v_mov_b32_e32 v161, v159
	v_mov_b32_e32 v159, v160
	v_wmma_f32_16x16x16_f16 v[0:7], v[136:139], v[64:67], v[0:7]
	v_wmma_f32_16x16x16_f16 v[40:47], v[144:147], v[64:67], v[40:47]
	;; [unrolled: 1-line block ×3, first 2 shown]
	s_wait_dscnt 0x0
	v_wmma_f32_16x16x16_f16 v[9:16], v[96:99], v[64:67], v[9:16]
	.loc	1 105 25                        ; attention_bwd.py:105:25 @[ attention_bwd.py:253:40 ]
	v_exp_f32_e32 v64, v72
	v_exp_f32_e32 v67, v78
	;; [unrolled: 1-line block ×3, first 2 shown]
	v_mov_b32_e32 v160, v148
	v_dual_mov_b32 v148, v149 :: v_dual_mov_b32 v149, v150
	v_exp_f32_e32 v65, v74
	v_mov_b32_e32 v150, v151
	s_clause 0x3                            ; 64-byte Folded Spill
	scratch_store_b128 off, v[40:43], off
	scratch_store_b128 off, v[44:47], off offset:16
	scratch_store_b128 off, v[32:35], off offset:32
	;; [unrolled: 1-line block ×3, first 2 shown]
	.loc	1 114 19                        ; attention_bwd.py:114:19 @[ attention_bwd.py:253:40 ]
	v_fma_mixlo_f16 v64, v64, v68, 0
	.loc	1 105 25                        ; attention_bwd.py:105:25 @[ attention_bwd.py:253:40 ]
	v_exp_f32_e32 v68, v79
	.loc	1 114 19                        ; attention_bwd.py:114:19 @[ attention_bwd.py:253:40 ]
	v_fma_mixlo_f16 v67, v67, v82, 0
	v_fma_mixlo_f16 v66, v66, v80, 0
	v_mov_b32_e32 v82, v126
	s_clause 0x1                            ; 32-byte Folded Spill
	scratch_store_b128 off, v[9:12], off offset:64
	scratch_store_b128 off, v[13:16], off offset:80
	v_fma_mixlo_f16 v65, v65, v70, 0
	v_dual_mov_b32 v151, v152 :: v_dual_mov_b32 v152, v8
	.loc	1 117 25                        ; attention_bwd.py:117:25 @[ attention_bwd.py:253:40 ]
	v_fma_mixhi_f16 v67, v68, v83, 0
	.loc	1 105 25                        ; attention_bwd.py:105:25 @[ attention_bwd.py:253:40 ]
	v_exp_f32_e32 v68, v77
	v_mov_b32_e32 v83, v127
	s_delay_alu instid0(TRANS32_DEP_1) | instskip(SKIP_1) | instid1(TRANS32_DEP_1)
	.loc	1 117 25                        ; attention_bwd.py:117:25 @[ attention_bwd.py:253:40 ]
	v_fma_mixhi_f16 v66, v68, v81, 0
	.loc	1 105 25                        ; attention_bwd.py:105:25 @[ attention_bwd.py:253:40 ]
	v_exp_f32_e32 v68, v75
	.loc	1 117 25                        ; attention_bwd.py:117:25 @[ attention_bwd.py:253:40 ]
	v_fma_mixhi_f16 v65, v68, v71, 0
	.loc	1 105 25                        ; attention_bwd.py:105:25 @[ attention_bwd.py:253:40 ]
	v_exp_f32_e32 v68, v73
	s_delay_alu instid0(TRANS32_DEP_1) | instskip(NEXT) | instid1(VALU_DEP_1)
	.loc	1 117 25                        ; attention_bwd.py:117:25 @[ attention_bwd.py:253:40 ]
	v_fma_mixhi_f16 v64, v68, v69, 0
	v_wmma_f32_16x16x16_f16 v[108:115], v[144:147], v[64:67], v[108:115]
	s_clause 0x1                            ; 8-byte Folded Reload
	scratch_load_b32 v146, off, off offset:660 th:TH_LOAD_LU
	scratch_load_b32 v144, off, off offset:584 th:TH_LOAD_LU
	v_wmma_f32_16x16x16_f16 v[190:197], v[136:139], v[64:67], v[190:197]
	s_clause 0x3                            ; 16-byte Folded Reload
	scratch_load_b32 v139, off, off offset:480 th:TH_LOAD_LU
	scratch_load_b32 v138, off, off offset:448 th:TH_LOAD_LU
	;; [unrolled: 1-line block ×4, first 2 shown]
	v_wmma_f32_16x16x16_f16 v[24:31], v[88:91], v[64:67], v[24:31]
	v_wmma_f32_16x16x16_f16 v[48:55], v[96:99], v[64:67], v[48:55]
	.loc	1 121 19                        ; attention_bwd.py:121:19 @[ attention_bwd.py:253:40 ]
	v_add_co_u32 v64, vcc_lo, v17, s8
	s_wait_alu depctr_va_vcc(0)
	v_add_co_ci_u32_e64 v65, null, s9, v18, vcc_lo
	s_clause 0x3                            ; 64-byte Folded Spill
	scratch_store_b128 off, v[190:193], off offset:96
	scratch_store_b128 off, v[194:197], off offset:112
	scratch_store_b128 off, v[108:111], off offset:128
	scratch_store_b128 off, v[112:115], off offset:144
	.loc	1 103 21                        ; attention_bwd.py:103:21 @[ attention_bwd.py:253:40 ]
	global_load_u16 v66, v[64:65], off
	.loc	1 121 19                        ; attention_bwd.py:121:19 @[ attention_bwd.py:253:40 ]
	v_add_co_u32 v64, vcc_lo, v149, s8
	s_wait_alu depctr_va_vcc(0)
	v_add_co_ci_u32_e64 v65, null, s9, v150, vcc_lo
	.loc	1 103 21                        ; attention_bwd.py:103:21 @[ attention_bwd.py:253:40 ]
	global_load_u16 v67, v[64:65], off
	.loc	1 121 19                        ; attention_bwd.py:121:19 @[ attention_bwd.py:253:40 ]
	s_wait_loadcnt 0x12
	v_add_co_u32 v64, vcc_lo, v143, s8
	s_wait_loadcnt 0x6
	s_wait_alu depctr_va_vcc(0)
	v_add_co_ci_u32_e64 v65, null, s9, v144, vcc_lo
	.loc	1 103 21                        ; attention_bwd.py:103:21 @[ attention_bwd.py:253:40 ]
	global_load_u16 v68, v[64:65], off
	.loc	1 121 19                        ; attention_bwd.py:121:19 @[ attention_bwd.py:253:40 ]
	v_add_co_u32 v64, vcc_lo, v141, s8
	s_wait_alu depctr_va_vcc(0)
	v_add_co_ci_u32_e64 v65, null, s9, v142, vcc_lo
	.loc	1 103 21                        ; attention_bwd.py:103:21 @[ attention_bwd.py:253:40 ]
	global_load_u16 v69, v[64:65], off
	.loc	1 121 19                        ; attention_bwd.py:121:19 @[ attention_bwd.py:253:40 ]
	s_wait_loadcnt 0x7
	v_add_co_u32 v64, vcc_lo, v139, s8
	s_wait_alu depctr_va_vcc(0)
	v_add_co_ci_u32_e64 v65, null, s9, v140, vcc_lo
	.loc	1 103 21                        ; attention_bwd.py:103:21 @[ attention_bwd.py:253:40 ]
	global_load_u16 v70, v[64:65], off
	.loc	1 121 19                        ; attention_bwd.py:121:19 @[ attention_bwd.py:253:40 ]
	s_wait_loadcnt 0x6
	v_add_co_u32 v64, vcc_lo, v137, s8
	s_wait_alu depctr_va_vcc(0)
	v_add_co_ci_u32_e64 v65, null, s9, v138, vcc_lo
	.loc	1 103 21                        ; attention_bwd.py:103:21 @[ attention_bwd.py:253:40 ]
	global_load_u16 v71, v[64:65], off
	.loc	1 121 19                        ; attention_bwd.py:121:19 @[ attention_bwd.py:253:40 ]
	v_add_co_u32 v64, vcc_lo, v135, s8
	s_wait_loadcnt 0x6
	s_wait_alu depctr_va_vcc(0)
	v_add_co_ci_u32_e64 v65, null, s9, v136, vcc_lo
	.loc	1 103 21                        ; attention_bwd.py:103:21 @[ attention_bwd.py:253:40 ]
	global_load_u16 v72, v[64:65], off
	.loc	1 121 19                        ; attention_bwd.py:121:19 @[ attention_bwd.py:253:40 ]
	v_add_co_u32 v64, vcc_lo, v208, s8
	s_wait_alu depctr_va_vcc(0)
	v_add_co_ci_u32_e64 v65, null, s9, v134, vcc_lo
	.loc	1 103 21                        ; attention_bwd.py:103:21 @[ attention_bwd.py:253:40 ]
	global_load_u16 v73, v[64:65], off
	.loc	1 121 19                        ; attention_bwd.py:121:19 @[ attention_bwd.py:253:40 ]
	v_add_co_u32 v64, vcc_lo, v131, s8
	;; [unrolled: 6-line block ×9, first 2 shown]
	s_wait_alu depctr_va_vcc(0)
	v_add_co_ci_u32_e64 v65, null, s9, v82, vcc_lo
	.loc	1 101 25                        ; attention_bwd.py:101:25 @[ attention_bwd.py:253:40 ]
	v_add_co_u32 v185, vcc_lo, v185, s0
	s_wait_alu depctr_va_vcc(0)
	v_add_co_ci_u32_e64 v82, null, s1, v82, vcc_lo
	.loc	1 103 21                        ; attention_bwd.py:103:21 @[ attention_bwd.py:253:40 ]
	global_load_u16 v64, v[64:65], off
	.loc	1 101 25                        ; attention_bwd.py:101:25 @[ attention_bwd.py:253:40 ]
	v_add_co_u32 v83, vcc_lo, v83, s0
	s_wait_alu depctr_va_vcc(0)
	v_add_co_ci_u32_e64 v84, null, s1, v84, vcc_lo
	v_add_co_u32 v166, vcc_lo, v166, s0
	s_wait_alu depctr_va_vcc(0)
	v_add_co_ci_u32_e64 v167, null, s1, v167, vcc_lo
	;; [unrolled: 3-line block ×15, first 2 shown]
	.loc	1 102 21                        ; attention_bwd.py:102:21 @[ attention_bwd.py:253:40 ]
	s_wait_loadcnt 0x0
	s_wait_storecnt 0x0
	s_barrier_signal -1
	s_barrier_wait -1
	global_inv scope:SCOPE_SE
	scratch_load_b32 v8, off, off offset:668 th:TH_LOAD_LU ; 4-byte Folded Reload
	.loc	1 103 21                        ; attention_bwd.py:103:21 @[ attention_bwd.py:253:40 ]
	ds_store_b16 v234, v76 offset:6656
	ds_store_b16 v234, v77 offset:6912
	;; [unrolled: 1-line block ×4, first 2 shown]
	s_clause 0x3                            ; 16-byte Folded Reload
	scratch_load_b32 v76, off, off offset:628 th:TH_LOAD_LU
	scratch_load_b32 v77, off, off offset:636 th:TH_LOAD_LU
	;; [unrolled: 1-line block ×4, first 2 shown]
	ds_store_b16 v234, v70 offset:5120
	ds_store_b16 v234, v71 offset:5376
	;; [unrolled: 1-line block ×3, first 2 shown]
	.loc	1 102 21                        ; attention_bwd.py:102:21 @[ attention_bwd.py:253:40 ]
	ds_store_b16 v234, v21
	ds_store_b16 v234, v22 offset:256
	ds_store_b16 v234, v23 offset:512
	.loc	1 103 21                        ; attention_bwd.py:103:21 @[ attention_bwd.py:253:40 ]
	ds_store_b16 v234, v80 offset:7680
	ds_store_b16 v234, v64 offset:7936
	;; [unrolled: 1-line block ×8, first 2 shown]
	s_clause 0x6                            ; 28-byte Folded Reload
	scratch_load_b32 v67, off, off offset:592 th:TH_LOAD_LU
	scratch_load_b32 v68, off, off offset:596 th:TH_LOAD_LU
	;; [unrolled: 1-line block ×7, first 2 shown]
	.loc	1 102 21                        ; attention_bwd.py:102:21 @[ attention_bwd.py:253:40 ]
	s_wait_loadcnt 0xb
	ds_store_b16 v234, v8 offset:768
	scratch_load_b32 v8, off, off offset:676 th:TH_LOAD_LU ; 4-byte Folded Reload
	s_wait_loadcnt 0x0
	ds_store_b16 v234, v8 offset:1024
	scratch_load_b32 v8, off, off offset:680 th:TH_LOAD_LU ; 4-byte Folded Reload
	;; [unrolled: 3-line block ×12, first 2 shown]
	s_wait_loadcnt 0x0
	ds_store_b16 v234, v8 offset:3840
	.loc	1 103 21                        ; attention_bwd.py:103:21 @[ attention_bwd.py:253:40 ]
	ds_store_b16 v234, v66 offset:4096
	scratch_load_b32 v66, off, off offset:588 th:TH_LOAD_LU ; 4-byte Folded Reload
	.loc	1 101 25                        ; attention_bwd.py:101:25 @[ attention_bwd.py:253:40 ]
	s_wait_loadcnt 0x0
	v_add_co_u32 v66, vcc_lo, v66, s0
	s_wait_alu depctr_va_vcc(0)
	v_add_co_ci_u32_e64 v67, null, s1, v67, vcc_lo
	v_add_co_u32 v68, vcc_lo, v68, s0
	s_wait_alu depctr_va_vcc(0)
	v_add_co_ci_u32_e64 v69, null, s1, v69, vcc_lo
	;; [unrolled: 3-line block ×16, first 2 shown]
	s_cbranch_scc1 .LBB0_118
; %bb.119:                              ; %Flow
	.loc	1 0 25 is_stmt 0                ; attention_bwd.py:0:25
	s_clause 0x11                           ; 288-byte Folded Reload
	scratch_load_b128 v[206:209], off, off offset:128
	scratch_load_b128 v[210:213], off, off offset:144
	;; [unrolled: 1-line block ×8, first 2 shown]
	scratch_load_b128 v[235:238], off, off
	scratch_load_b128 v[239:242], off, off offset:16
	scratch_load_b128 v[171:174], off, off offset:884
	;; [unrolled: 1-line block ×9, first 2 shown]
	v_dual_mov_b32 v205, v31 :: v_dual_mov_b32 v204, v30
	v_dual_mov_b32 v221, v55 :: v_dual_mov_b32 v220, v54
	;; [unrolled: 1-line block ×8, first 2 shown]
.LBB0_120:                              ; %._crit_edge331
	.loc	1 117 25 is_stmt 1              ; attention_bwd.py:117:25 @[ attention_bwd.py:253:40 ]
	s_wait_loadcnt_dscnt 0x0
	s_barrier_signal -1
	v_readlane_b32 s0, v255, 21
	v_readlane_b32 s1, v255, 22
	.loc	1 104 23                        ; attention_bwd.py:104:23 @[ attention_bwd.py:253:40 ]
	s_and_b32 vcc_lo, exec_lo, s33
	v_readlane_b32 s2, v255, 23
	v_readlane_b32 s3, v255, 24
	.loc	1 117 25                        ; attention_bwd.py:117:25 @[ attention_bwd.py:253:40 ]
	s_barrier_wait -1
	global_inv scope:SCOPE_SE
	.loc	1 104 23                        ; attention_bwd.py:104:23 @[ attention_bwd.py:253:40 ]
	s_wait_alu depctr_sa_sdst(0)
	s_cbranch_vccnz .LBB0_122
; %bb.121:
	.loc	1 0 23 is_stmt 0                ; attention_bwd.py:0:23
	scratch_load_b128 v[17:20], off, off offset:756 th:TH_LOAD_LU ; 16-byte Folded Reload
	.loc	1 102 21 is_stmt 1              ; attention_bwd.py:102:21 @[ attention_bwd.py:253:40 ]
	ds_load_u16 v64, v225 offset:1024
	ds_load_u16 v71, v225 offset:416
	;; [unrolled: 1-line block ×11, first 2 shown]
	s_wait_dscnt 0xa
	ds_load_u16_d16_hi v64, v225 offset:1088
	ds_load_u16 v73, v225 offset:128
	ds_load_u16 v75, v225 offset:384
	ds_load_u16 v66, v225 offset:1280
	ds_load_u16 v67, v225 offset:1408
	ds_load_u16 v77, v225 offset:1184
	ds_load_u16 v76, v225 offset:1056
	ds_load_u16 v79, v225 offset:1440
	ds_load_u16 v78, v225 offset:1312
	s_wait_dscnt 0x12
	ds_load_u16_d16_hi v71, v225 offset:480
	ds_load_u16 v74, v225 offset:256
	ds_load_u16 v72, v225
	s_wait_dscnt 0xa
	ds_load_u16_d16_hi v73, v225 offset:192
	ds_load_u16_d16_hi v68, v225 offset:96
	;; [unrolled: 1-line block ×4, first 2 shown]
	s_wait_dscnt 0xd
	ds_load_u16_d16_hi v75, v225 offset:448
	ds_load_u16 v80, v225 offset:2048
	ds_load_u16 v81, v225 offset:2176
	s_wait_dscnt 0xf
	ds_load_u16_d16_hi v66, v225 offset:1344
	s_wait_dscnt 0xe
	ds_load_u16_d16_hi v77, v225 offset:1248
	;; [unrolled: 2-line block ×5, first 2 shown]
	ds_load_u16_d16_hi v65, v225 offset:1216
	s_wait_dscnt 0x7
	ds_load_u16_d16_hi v80, v225 offset:2112
	ds_load_u16 v84, v225 offset:2080
	ds_load_u16_d16_hi v67, v225 offset:1472
	ds_load_u16_d16_hi v74, v225 offset:320
	;; [unrolled: 1-line block ×3, first 2 shown]
	.loc	1 104 23                        ; attention_bwd.py:104:23 @[ attention_bwd.py:253:40 ]
	v_wmma_f32_16x16x16_f16 v[128:135], v[68:71], v[96:99], 0
	v_wmma_f32_16x16x16_f16 v[136:143], v[68:71], v[100:103], 0
	s_wait_dscnt 0x6
	s_delay_alu instid0(VALU_DEP_2) | instskip(NEXT) | instid1(VALU_DEP_2)
	v_wmma_f32_16x16x16_f16 v[128:135], v[76:79], v[104:107], v[128:135]
	v_wmma_f32_16x16x16_f16 v[136:143], v[76:79], v[162:165], v[136:143]
	s_wait_dscnt 0x0
	v_wmma_f32_16x16x16_f16 v[144:151], v[72:75], v[100:103], 0
	v_wmma_f32_16x16x16_f16 v[152:159], v[72:75], v[96:99], 0
	s_delay_alu instid0(VALU_DEP_2) | instskip(SKIP_1) | instid1(VALU_DEP_3)
	v_wmma_f32_16x16x16_f16 v[144:151], v[64:67], v[162:165], v[144:151]
	v_mov_b32_e32 v166, v124
	v_wmma_f32_16x16x16_f16 v[152:159], v[64:67], v[104:107], v[152:159]
	.loc	1 102 21                        ; attention_bwd.py:102:21 @[ attention_bwd.py:253:40 ]
	ds_load_u16_d16_hi v83, v225 offset:2496
	ds_load_u16 v64, v225 offset:3072
	ds_load_u16_d16_hi v86, v225 offset:2400
	ds_load_u16_d16_hi v87, v225 offset:2528
	ds_load_u16_d16_hi v85, v225 offset:2272
	ds_load_u16_d16_hi v84, v225 offset:2144
	ds_load_u16_d16_hi v82, v225 offset:2368
	ds_load_u16_d16_hi v81, v225 offset:2240
	ds_load_u16 v66, v225 offset:3328
	s_wait_dscnt 0x7
	ds_load_u16_d16_hi v64, v225 offset:3136
	ds_load_u16 v68, v225 offset:3104
	ds_load_u16 v65, v225 offset:3200
	;; [unrolled: 1-line block ×3, first 2 shown]
	.loc	1 103 21                        ; attention_bwd.py:103:21 @[ attention_bwd.py:253:40 ]
	ds_load_u16 v72, v225 offset:4096
	.loc	1 102 21                        ; attention_bwd.py:102:21 @[ attention_bwd.py:253:40 ]
	ds_load_u16 v70, v225 offset:3360
	ds_load_u16 v69, v225 offset:3232
	.loc	1 103 21                        ; attention_bwd.py:103:21 @[ attention_bwd.py:253:40 ]
	s_wait_dscnt 0x2
	ds_load_u16_d16_hi v72, v225 offset:4160
	.loc	1 102 21                        ; attention_bwd.py:102:21 @[ attention_bwd.py:253:40 ]
	ds_load_u16 v67, v225 offset:3456
	ds_load_u16_d16_hi v71, v225 offset:3552
	ds_load_u16_d16_hi v65, v225 offset:3264
	;; [unrolled: 1-line block ×3, first 2 shown]
	s_wait_dscnt 0x6
	ds_load_u16_d16_hi v70, v225 offset:3424
	s_wait_dscnt 0x6
	ds_load_u16_d16_hi v69, v225 offset:3296
	;; [unrolled: 2-line block ×3, first 2 shown]
	.loc	1 103 21                        ; attention_bwd.py:103:21 @[ attention_bwd.py:253:40 ]
	ds_load_u16 v75, v225 offset:4480
	ds_load_u16 v76, v225 offset:4128
	;; [unrolled: 1-line block ×3, first 2 shown]
	.loc	1 102 21                        ; attention_bwd.py:102:21 @[ attention_bwd.py:253:40 ]
	ds_load_u16_d16_hi v66, v225 offset:3392
	.loc	1 104 23                        ; attention_bwd.py:104:23 @[ attention_bwd.py:253:40 ]
	v_wmma_f32_16x16x16_f16 v[128:135], v[84:87], v[92:95], v[128:135]
	v_wmma_f32_16x16x16_f16 v[136:143], v[84:87], v[88:91], v[136:143]
	;; [unrolled: 1-line block ×4, first 2 shown]
	v_mov_b32_e32 v165, v123
	s_wait_dscnt 0x5
	v_wmma_f32_16x16x16_f16 v[128:135], v[68:71], v[181:184], v[128:135]
	v_dual_mov_b32 v164, v122 :: v_dual_mov_b32 v163, v121
	s_delay_alu instid0(VALU_DEP_2) | instskip(NEXT) | instid1(VALU_DEP_3)
	.loc	1 105 30                        ; attention_bwd.py:105:30 @[ attention_bwd.py:253:40 ]
	v_sub_f32_e32 v80, v135, v189
	v_sub_f32_e32 v81, v133, v189
	s_delay_alu instid0(VALU_DEP_4)
	v_sub_f32_e32 v83, v129, v189
	v_sub_f32_e32 v84, v134, v189
	;; [unrolled: 1-line block ×4, first 2 shown]
	.loc	1 104 23                        ; attention_bwd.py:104:23 @[ attention_bwd.py:253:40 ]
	s_wait_dscnt 0x0
	v_wmma_f32_16x16x16_f16 v[152:159], v[64:67], v[181:184], v[152:159]
	scratch_load_b128 v[179:182], off, off offset:724 th:TH_LOAD_LU ; 16-byte Folded Reload
	.loc	1 105 30                        ; attention_bwd.py:105:30 @[ attention_bwd.py:253:40 ]
	v_sub_f32_e32 v112, v159, v189
	v_dual_mov_b32 v162, v119 :: v_dual_mov_b32 v161, v118
	v_mov_b32_e32 v159, v116
	s_delay_alu instid0(VALU_DEP_3)
	.loc	1 105 25 is_stmt 0              ; attention_bwd.py:105:25 @[ attention_bwd.py:253:40 ]
	v_exp_f32_e32 v112, v112
	.loc	1 104 23 is_stmt 1              ; attention_bwd.py:104:23 @[ attention_bwd.py:253:40 ]
	s_wait_loadcnt 0x1
	v_wmma_f32_16x16x16_f16 v[136:143], v[68:71], v[17:20], v[136:143]
	v_wmma_f32_16x16x16_f16 v[144:151], v[64:67], v[17:20], v[144:151]
	.loc	1 103 21                        ; attention_bwd.py:103:21 @[ attention_bwd.py:253:40 ]
	ds_load_u16 v78, v225 offset:4384
	ds_load_u16 v74, v225 offset:4352
	ds_load_u16 v73, v225 offset:4224
	ds_load_u16 v79, v225 offset:4512
	ds_load_u16 v64, v225 offset:5120
	ds_load_u16 v65, v225 offset:5248
	ds_load_u16 v68, v225 offset:5152
	ds_load_u16 v70, v225 offset:5408
	ds_load_u16 v69, v225 offset:5280
	ds_load_u16 v71, v225 offset:5536
	ds_load_u16 v88, v225 offset:6144
	ds_load_u16 v89, v225 offset:6272
	ds_load_u16 v90, v225 offset:6400
	.loc	1 105 30                        ; attention_bwd.py:105:30 @[ attention_bwd.py:253:40 ]
	v_sub_f32_e32 v85, v130, v189
	v_dual_sub_f32 v86, v128, v189 :: v_dual_sub_f32 v105, v141, v188
	v_dual_mov_b32 v160, v117 :: v_dual_sub_f32 v101, v146, v188
	v_dual_sub_f32 v158, v158, v189 :: v_dual_sub_f32 v111, v140, v188
	v_dual_sub_f32 v113, v157, v189 :: v_dual_sub_f32 v108, v142, v188
	;; [unrolled: 1-line block ×5, first 2 shown]
	.loc	1 103 21                        ; attention_bwd.py:103:21 @[ attention_bwd.py:253:40 ]
	s_wait_dscnt 0x2
	ds_load_u16_d16_hi v88, v225 offset:6208
	ds_load_u16 v67, v225 offset:5504
	ds_load_u16_d16_hi v76, v225 offset:4192
	ds_load_u16_d16_hi v75, v225 offset:4544
	;; [unrolled: 1-line block ×4, first 2 shown]
	ds_load_u16 v66, v225 offset:5376
	ds_load_u16_d16_hi v64, v225 offset:5184
	ds_load_u16_d16_hi v79, v225 offset:4576
	;; [unrolled: 1-line block ×9, first 2 shown]
	.loc	1 105 30                        ; attention_bwd.py:105:30 @[ attention_bwd.py:253:40 ]
	v_sub_f32_e32 v104, v143, v188
	v_sub_f32_e32 v110, v136, v188
	;; [unrolled: 1-line block ×4, first 2 shown]
	v_dual_sub_f32 v103, v144, v188 :: v_dual_sub_f32 v154, v154, v189
	v_sub_f32_e32 v99, v148, v188
	v_dual_sub_f32 v152, v152, v189 :: v_dual_sub_f32 v97, v150, v188
	.loc	1 103 21                        ; attention_bwd.py:103:21 @[ attention_bwd.py:253:40 ]
	s_wait_dscnt 0xe
	ds_load_u16_d16_hi v67, v225 offset:5568
	ds_load_u16 v91, v225 offset:6528
	ds_load_u16 v92, v225 offset:6176
	;; [unrolled: 1-line block ×3, first 2 shown]
	s_wait_dscnt 0xd
	ds_load_u16_d16_hi v66, v225 offset:5440
	.loc	1 112 24                        ; attention_bwd.py:112:24 @[ attention_bwd.py:253:40 ]
	s_wait_dscnt 0xc
	v_wmma_f32_16x16x16_f16 v[116:123], v[76:79], v[171:174], 0
	v_wmma_f32_16x16x16_f16 v[124:131], v[76:79], v[175:178], 0
	scratch_load_b128 v[76:79], off, off offset:740 th:TH_LOAD_LU ; 16-byte Folded Reload
	s_wait_dscnt 0x5
	v_wmma_f32_16x16x16_f16 v[132:139], v[72:75], v[175:178], 0
	v_wmma_f32_16x16x16_f16 v[140:147], v[72:75], v[171:174], 0
	.loc	1 105 25                        ; attention_bwd.py:105:25 @[ attention_bwd.py:253:40 ]
	v_exp_f32_e32 v74, v99
	.loc	1 112 24                        ; attention_bwd.py:112:24 @[ attention_bwd.py:253:40 ]
	s_wait_loadcnt_dscnt 0x100
	s_delay_alu instid0(VALU_DEP_1)
	v_wmma_f32_16x16x16_f16 v[140:147], v[64:67], v[179:182], v[140:147]
	v_wmma_f32_16x16x16_f16 v[116:123], v[68:71], v[179:182], v[116:123]
	s_wait_loadcnt 0x0
	v_wmma_f32_16x16x16_f16 v[132:139], v[64:67], v[76:79], v[132:139]
	.loc	1 103 21                        ; attention_bwd.py:103:21 @[ attention_bwd.py:253:40 ]
	ds_load_u16 v94, v225 offset:6432
	ds_load_u16 v95, v225 offset:6560
	ds_load_u16_d16_hi v91, v225 offset:6592
	ds_load_u16 v64, v225 offset:7168
	.loc	1 112 24                        ; attention_bwd.py:112:24 @[ attention_bwd.py:253:40 ]
	v_wmma_f32_16x16x16_f16 v[124:131], v[68:71], v[76:79], v[124:131]
	.loc	1 103 21                        ; attention_bwd.py:103:21 @[ attention_bwd.py:253:40 ]
	ds_load_u16 v71, v225 offset:7584
	ds_load_u16 v67, v225 offset:7552
	;; [unrolled: 1-line block ×6, first 2 shown]
	s_wait_dscnt 0x9
	ds_load_u16_d16_hi v94, v225 offset:6496
	s_wait_dscnt 0x9
	ds_load_u16_d16_hi v95, v225 offset:6624
	ds_load_u16_d16_hi v92, v225 offset:6240
	;; [unrolled: 1-line block ×5, first 2 shown]
	s_wait_dscnt 0xc
	ds_load_u16_d16_hi v64, v225 offset:7232
	ds_load_u16 v68, v225 offset:7200
	s_wait_dscnt 0xd
	ds_load_u16_d16_hi v71, v225 offset:7648
	s_wait_dscnt 0xc
	ds_load_u16_d16_hi v65, v225 offset:7360
	;; [unrolled: 2-line block ×3, first 2 shown]
	ds_load_u16_d16_hi v69, v225 offset:7392
	ds_load_u16_d16_hi v70, v225 offset:7520
	;; [unrolled: 1-line block ×4, first 2 shown]
	.loc	1 112 24                        ; attention_bwd.py:112:24 @[ attention_bwd.py:253:40 ]
	v_wmma_f32_16x16x16_f16 v[116:123], v[92:95], v[60:63], v[116:123]
	v_wmma_f32_16x16x16_f16 v[140:147], v[88:91], v[60:63], v[140:147]
	s_wait_dscnt 0x2
	s_delay_alu instid0(VALU_DEP_2)
	v_wmma_f32_16x16x16_f16 v[116:123], v[68:71], v[163:166], v[116:123]
	.loc	1 105 30                        ; attention_bwd.py:105:30 @[ attention_bwd.py:253:40 ]
	v_sub_f32_e32 v96, v151, v188
	v_sub_f32_e32 v98, v149, v188
	scratch_load_b128 v[148:151], off, off offset:772 th:TH_LOAD_LU ; 16-byte Folded Reload
	.loc	1 112 24                        ; attention_bwd.py:112:24 @[ attention_bwd.py:253:40 ]
	s_wait_dscnt 0x0
	v_wmma_f32_16x16x16_f16 v[140:147], v[64:67], v[163:166], v[140:147]
	.loc	1 113 23                        ; attention_bwd.py:113:23 @[ attention_bwd.py:253:40 ]
	v_sub_f32_e32 v121, v121, v187
	v_sub_f32_e32 v122, v122, v187
	;; [unrolled: 1-line block ×3, first 2 shown]
	s_delay_alu instid0(VALU_DEP_4)
	v_sub_f32_e32 v147, v147, v187
	.loc	1 112 24                        ; attention_bwd.py:112:24 @[ attention_bwd.py:253:40 ]
	s_wait_loadcnt 0x0
	v_wmma_f32_16x16x16_f16 v[132:139], v[88:91], v[148:151], v[132:139]
	v_wmma_f32_16x16x16_f16 v[124:131], v[92:95], v[148:151], v[124:131]
	.loc	1 113 23                        ; attention_bwd.py:113:23 @[ attention_bwd.py:253:40 ]
	v_sub_f32_e32 v149, v116, v187
	v_sub_f32_e32 v151, v117, v187
	.loc	1 117 25                        ; attention_bwd.py:117:25 @[ attention_bwd.py:253:40 ]
	ds_load_b128 v[76:79], v226 offset:1024
	ds_load_b128 v[88:91], v226 offset:1056
	.loc	1 112 24                        ; attention_bwd.py:112:24 @[ attention_bwd.py:253:40 ]
	v_wmma_f32_16x16x16_f16 v[132:139], v[64:67], v[159:162], v[132:139]
	.loc	1 105 25                        ; attention_bwd.py:105:25 @[ attention_bwd.py:253:40 ]
	v_exp_f32_e32 v66, v97
	.loc	1 113 23                        ; attention_bwd.py:113:23 @[ attention_bwd.py:253:40 ]
	v_sub_f32_e32 v145, v145, v187
	.loc	1 112 24                        ; attention_bwd.py:112:24 @[ attention_bwd.py:253:40 ]
	v_wmma_f32_16x16x16_f16 v[124:131], v[68:71], v[159:162], v[124:131]
	s_delay_alu instid0(VALU_DEP_3)
	.loc	1 113 23                        ; attention_bwd.py:113:23 @[ attention_bwd.py:253:40 ]
	v_dual_sub_f32 v120, v120, v187 :: v_dual_sub_f32 v69, v134, v186
	v_sub_f32_e32 v64, v138, v186
	v_dual_sub_f32 v148, v118, v187 :: v_dual_sub_f32 v65, v136, v186
	v_dual_sub_f32 v141, v141, v187 :: v_dual_sub_f32 v68, v139, v186
	s_delay_alu instid0(TRANS32_DEP_1) | instid1(VALU_DEP_3)
	.loc	1 114 19                        ; attention_bwd.py:114:19 @[ attention_bwd.py:253:40 ]
	v_fma_mixlo_f16 v67, v64, v66, 0
	.loc	1 105 25                        ; attention_bwd.py:105:25 @[ attention_bwd.py:253:40 ]
	v_exp_f32_e32 v64, v101
	s_delay_alu instid0(VALU_DEP_3)
	.loc	1 114 19                        ; attention_bwd.py:114:19 @[ attention_bwd.py:253:40 ]
	v_fma_mixlo_f16 v66, v65, v74, 0
	.loc	1 113 23                        ; attention_bwd.py:113:23 @[ attention_bwd.py:253:40 ]
	v_dual_sub_f32 v143, v143, v187 :: v_dual_sub_f32 v70, v137, v186
	v_sub_f32_e32 v72, v135, v186
	v_dual_sub_f32 v150, v119, v187 :: v_dual_sub_f32 v71, v132, v186
	v_dual_sub_f32 v146, v146, v187 :: v_dual_sub_f32 v73, v133, v186
	;; [unrolled: 1-line block ×3, first 2 shown]
	s_delay_alu instid0(TRANS32_DEP_1)
	.loc	1 114 19                        ; attention_bwd.py:114:19 @[ attention_bwd.py:253:40 ]
	v_fma_mixlo_f16 v65, v69, v64, 0
	.loc	1 105 25                        ; attention_bwd.py:105:25 @[ attention_bwd.py:253:40 ]
	v_exp_f32_e32 v69, v96
	v_exp_f32_e32 v64, v103
	.loc	1 113 23                        ; attention_bwd.py:113:23 @[ attention_bwd.py:253:40 ]
	v_dual_sub_f32 v142, v142, v187 :: v_dual_sub_f32 v129, v129, v186
	v_dual_sub_f32 v140, v140, v187 :: v_dual_sub_f32 v127, v127, v186
	v_sub_f32_e32 v130, v130, v186
	v_sub_f32_e32 v128, v128, v186
	;; [unrolled: 1-line block ×4, first 2 shown]
	s_delay_alu instid0(TRANS32_DEP_2) | instskip(SKIP_1) | instid1(TRANS32_DEP_2)
	.loc	1 117 25                        ; attention_bwd.py:117:25 @[ attention_bwd.py:253:40 ]
	v_fma_mixhi_f16 v67, v68, v69, 0
	.loc	1 105 25                        ; attention_bwd.py:105:25 @[ attention_bwd.py:253:40 ]
	v_exp_f32_e32 v68, v98
	.loc	1 114 19                        ; attention_bwd.py:114:19 @[ attention_bwd.py:253:40 ]
	v_fma_mixlo_f16 v64, v71, v64, 0
	.loc	1 117 25                        ; attention_bwd.py:117:25 @[ attention_bwd.py:253:40 ]
	ds_load_b128 v[92:95], v226 offset:2048
	ds_load_b128 v[96:99], v226 offset:2080
	.loc	1 113 23                        ; attention_bwd.py:113:23 @[ attention_bwd.py:253:40 ]
	v_sub_f32_e32 v125, v125, v186
	.loc	1 117 25                        ; attention_bwd.py:117:25 @[ attention_bwd.py:253:40 ]
	v_fma_mixhi_f16 v66, v70, v68, 0
	.loc	1 105 25                        ; attention_bwd.py:105:25 @[ attention_bwd.py:253:40 ]
	v_exp_f32_e32 v68, v100
	s_delay_alu instid0(TRANS32_DEP_1)
	.loc	1 117 25                        ; attention_bwd.py:117:25 @[ attention_bwd.py:253:40 ]
	v_fma_mixhi_f16 v65, v72, v68, 0
	.loc	1 105 25                        ; attention_bwd.py:105:25 @[ attention_bwd.py:253:40 ]
	v_exp_f32_e32 v68, v102
	.loc	1 117 25                        ; attention_bwd.py:117:25 @[ attention_bwd.py:253:40 ]
	ds_load_b128 v[100:103], v226 offset:3072
	ds_load_b128 v[116:119], v226 offset:3104
	v_fma_mixhi_f16 v64, v73, v68, 0
	ds_load_b128 v[68:71], v226
	ds_load_b128 v[72:75], v226 offset:32
	s_wait_dscnt 0x7
	v_wmma_f32_16x16x16_f16 v[235:242], v[76:79], v[64:67], v[235:242]
	s_wait_dscnt 0x5
	v_wmma_f32_16x16x16_f16 v[40:47], v[92:95], v[64:67], v[40:47]
	;; [unrolled: 2-line block ×4, first 2 shown]
	.loc	1 105 25                        ; attention_bwd.py:105:25 @[ attention_bwd.py:253:40 ]
	v_exp_f32_e32 v64, v158
	v_exp_f32_e32 v65, v156
	s_delay_alu instid0(TRANS32_DEP_2) | instskip(NEXT) | instid1(TRANS32_DEP_1)
	.loc	1 114 19                        ; attention_bwd.py:114:19 @[ attention_bwd.py:253:40 ]
	v_fma_mixlo_f16 v67, v146, v64, 0
	v_fma_mixlo_f16 v66, v144, v65, 0
	.loc	1 105 25                        ; attention_bwd.py:105:25 @[ attention_bwd.py:253:40 ]
	v_exp_f32_e32 v64, v154
	s_delay_alu instid0(VALU_DEP_2) | instskip(SKIP_1) | instid1(TRANS32_DEP_2)
	.loc	1 117 25                        ; attention_bwd.py:117:25 @[ attention_bwd.py:253:40 ]
	v_fma_mixhi_f16 v67, v147, v112, 0
	.loc	1 105 25                        ; attention_bwd.py:105:25 @[ attention_bwd.py:253:40 ]
	v_exp_f32_e32 v112, v113
	.loc	1 114 19                        ; attention_bwd.py:114:19 @[ attention_bwd.py:253:40 ]
	v_fma_mixlo_f16 v65, v142, v64, 0
	.loc	1 105 25                        ; attention_bwd.py:105:25 @[ attention_bwd.py:253:40 ]
	v_exp_f32_e32 v64, v152
	s_delay_alu instid0(TRANS32_DEP_2) | instskip(SKIP_1) | instid1(TRANS32_DEP_2)
	.loc	1 117 25                        ; attention_bwd.py:117:25 @[ attention_bwd.py:253:40 ]
	v_fma_mixhi_f16 v66, v145, v112, 0
	.loc	1 105 25                        ; attention_bwd.py:105:25 @[ attention_bwd.py:253:40 ]
	v_exp_f32_e32 v112, v114
	.loc	1 114 19                        ; attention_bwd.py:114:19 @[ attention_bwd.py:253:40 ]
	v_fma_mixlo_f16 v64, v140, v64, 0
	s_delay_alu instid0(TRANS32_DEP_1) | instskip(SKIP_1) | instid1(TRANS32_DEP_1)
	.loc	1 117 25                        ; attention_bwd.py:117:25 @[ attention_bwd.py:253:40 ]
	v_fma_mixhi_f16 v65, v143, v112, 0
	.loc	1 105 25                        ; attention_bwd.py:105:25 @[ attention_bwd.py:253:40 ]
	v_exp_f32_e32 v112, v115
	.loc	1 117 25                        ; attention_bwd.py:117:25 @[ attention_bwd.py:253:40 ]
	v_fma_mixhi_f16 v64, v141, v112, 0
	s_delay_alu instid0(VALU_DEP_1)
	v_wmma_f32_16x16x16_f16 v[9:16], v[68:71], v[64:67], v[9:16]
	v_wmma_f32_16x16x16_f16 v[206:213], v[76:79], v[64:67], v[206:213]
	;; [unrolled: 1-line block ×4, first 2 shown]
	.loc	1 105 25                        ; attention_bwd.py:105:25 @[ attention_bwd.py:253:40 ]
	v_exp_f32_e32 v64, v108
	v_exp_f32_e32 v68, v104
	;; [unrolled: 1-line block ×3, first 2 shown]
	s_delay_alu instid0(TRANS32_DEP_3) | instskip(SKIP_1) | instid1(TRANS32_DEP_2)
	.loc	1 114 19                        ; attention_bwd.py:114:19 @[ attention_bwd.py:253:40 ]
	v_fma_mixlo_f16 v67, v130, v64, 0
	.loc	1 105 25                        ; attention_bwd.py:105:25 @[ attention_bwd.py:253:40 ]
	v_exp_f32_e32 v64, v109
	.loc	1 114 19                        ; attention_bwd.py:114:19 @[ attention_bwd.py:253:40 ]
	v_fma_mixlo_f16 v66, v128, v65, 0
	s_delay_alu instid0(TRANS32_DEP_3) | instid1(VALU_DEP_2)
	.loc	1 117 25                        ; attention_bwd.py:117:25 @[ attention_bwd.py:253:40 ]
	v_fma_mixhi_f16 v67, v131, v68, 0
	.loc	1 105 25                        ; attention_bwd.py:105:25 @[ attention_bwd.py:253:40 ]
	v_exp_f32_e32 v68, v105
	s_delay_alu instid0(TRANS32_DEP_2) | instskip(SKIP_1) | instid1(TRANS32_DEP_2)
	.loc	1 114 19                        ; attention_bwd.py:114:19 @[ attention_bwd.py:253:40 ]
	v_fma_mixlo_f16 v65, v126, v64, 0
	.loc	1 105 25                        ; attention_bwd.py:105:25 @[ attention_bwd.py:253:40 ]
	v_exp_f32_e32 v64, v110
	.loc	1 117 25                        ; attention_bwd.py:117:25 @[ attention_bwd.py:253:40 ]
	v_fma_mixhi_f16 v66, v129, v68, 0
	.loc	1 105 25                        ; attention_bwd.py:105:25 @[ attention_bwd.py:253:40 ]
	v_exp_f32_e32 v68, v106
	s_delay_alu instid0(TRANS32_DEP_2) | instskip(NEXT) | instid1(TRANS32_DEP_1)
	.loc	1 114 19                        ; attention_bwd.py:114:19 @[ attention_bwd.py:253:40 ]
	v_fma_mixlo_f16 v64, v124, v64, 0
	.loc	1 117 25                        ; attention_bwd.py:117:25 @[ attention_bwd.py:253:40 ]
	v_fma_mixhi_f16 v65, v127, v68, 0
	.loc	1 105 25                        ; attention_bwd.py:105:25 @[ attention_bwd.py:253:40 ]
	v_exp_f32_e32 v68, v107
	s_delay_alu instid0(TRANS32_DEP_1) | instskip(SKIP_2) | instid1(VALU_DEP_1)
	.loc	1 117 25                        ; attention_bwd.py:117:25 @[ attention_bwd.py:253:40 ]
	v_fma_mixhi_f16 v64, v125, v68, 0
	.loc	1 105 25                        ; attention_bwd.py:105:25 @[ attention_bwd.py:253:40 ]
	v_exp_f32_e32 v68, v80
	.loc	1 117 25                        ; attention_bwd.py:117:25 @[ attention_bwd.py:253:40 ]
	s_wait_dscnt 0x0
	v_wmma_f32_16x16x16_f16 v[0:7], v[72:75], v[64:67], v[0:7]
	v_wmma_f32_16x16x16_f16 v[235:242], v[88:91], v[64:67], v[235:242]
	;; [unrolled: 1-line block ×4, first 2 shown]
	.loc	1 105 25                        ; attention_bwd.py:105:25 @[ attention_bwd.py:253:40 ]
	v_exp_f32_e32 v64, v84
	v_exp_f32_e32 v65, v87
	s_delay_alu instid0(TRANS32_DEP_2) | instskip(NEXT) | instid1(TRANS32_DEP_1)
	.loc	1 114 19                        ; attention_bwd.py:114:19 @[ attention_bwd.py:253:40 ]
	v_fma_mixlo_f16 v67, v122, v64, 0
	v_fma_mixlo_f16 v66, v120, v65, 0
	.loc	1 105 25                        ; attention_bwd.py:105:25 @[ attention_bwd.py:253:40 ]
	v_exp_f32_e32 v64, v85
	s_delay_alu instid0(VALU_DEP_2) | instskip(SKIP_1) | instid1(TRANS32_DEP_2)
	.loc	1 117 25                        ; attention_bwd.py:117:25 @[ attention_bwd.py:253:40 ]
	v_fma_mixhi_f16 v67, v123, v68, 0
	.loc	1 105 25                        ; attention_bwd.py:105:25 @[ attention_bwd.py:253:40 ]
	v_exp_f32_e32 v68, v81
	.loc	1 114 19                        ; attention_bwd.py:114:19 @[ attention_bwd.py:253:40 ]
	v_fma_mixlo_f16 v65, v148, v64, 0
	.loc	1 105 25                        ; attention_bwd.py:105:25 @[ attention_bwd.py:253:40 ]
	v_exp_f32_e32 v64, v86
	s_delay_alu instid0(TRANS32_DEP_2) | instskip(SKIP_1) | instid1(TRANS32_DEP_2)
	.loc	1 117 25                        ; attention_bwd.py:117:25 @[ attention_bwd.py:253:40 ]
	v_fma_mixhi_f16 v66, v121, v68, 0
	.loc	1 105 25                        ; attention_bwd.py:105:25 @[ attention_bwd.py:253:40 ]
	v_exp_f32_e32 v68, v82
	.loc	1 114 19                        ; attention_bwd.py:114:19 @[ attention_bwd.py:253:40 ]
	v_fma_mixlo_f16 v64, v149, v64, 0
	s_delay_alu instid0(TRANS32_DEP_1) | instskip(SKIP_1) | instid1(TRANS32_DEP_1)
	.loc	1 117 25                        ; attention_bwd.py:117:25 @[ attention_bwd.py:253:40 ]
	v_fma_mixhi_f16 v65, v150, v68, 0
	.loc	1 105 25                        ; attention_bwd.py:105:25 @[ attention_bwd.py:253:40 ]
	v_exp_f32_e32 v68, v83
	.loc	1 117 25                        ; attention_bwd.py:117:25 @[ attention_bwd.py:253:40 ]
	v_fma_mixhi_f16 v64, v151, v68, 0
	s_delay_alu instid0(VALU_DEP_1)
	v_wmma_f32_16x16x16_f16 v[9:16], v[72:75], v[64:67], v[9:16]
	v_wmma_f32_16x16x16_f16 v[206:213], v[88:91], v[64:67], v[206:213]
	;; [unrolled: 1-line block ×4, first 2 shown]
.Ltmp49:
.LBB0_122:                              ; %.critedge
	.loc	1 0 25 is_stmt 0                ; attention_bwd.py:0:25
	s_clause 0x3                            ; 32-byte Folded Reload
	scratch_load_b64 v[64:65], off, off offset:1012 th:TH_LOAD_LU
	scratch_load_b64 v[152:153], off, off offset:1020 th:TH_LOAD_LU
	;; [unrolled: 1-line block ×4, first 2 shown]
	.loc	1 152 10 is_stmt 1              ; attention_bwd.py:152:10
	s_add_nc_u64 s[0:1], s[0:1], s[8:9]
	s_clause 0x1c                           ; 232-byte Folded Reload
	scratch_load_b64 v[128:129], off, off offset:916 th:TH_LOAD_LU
	scratch_load_b64 v[130:131], off, off offset:924 th:TH_LOAD_LU
	;; [unrolled: 1-line block ×29, first 2 shown]
	.loc	1 257 19                        ; attention_bwd.py:257:19
	s_wait_loadcnt 0x20
	s_wait_alu depctr_sa_sdst(0)
	v_add_co_u32 v126, vcc_lo, s0, v64
	s_wait_alu depctr_va_vcc(0)
	v_add_co_ci_u32_e64 v127, null, s1, v65, vcc_lo
	scratch_load_b64 v[64:65], off, off offset:1236 th:TH_LOAD_LU ; 8-byte Folded Reload
	s_wait_loadcnt 0x0
	v_add_co_u32 v190, vcc_lo, s0, v64
	s_wait_alu depctr_va_vcc(0)
	v_add_co_ci_u32_e64 v191, null, s1, v65, vcc_lo
	.loc	1 257 50 is_stmt 0              ; attention_bwd.py:257:50
	v_add_co_u32 v64, vcc_lo, v126, v128
	s_wait_alu depctr_va_vcc(0)
	v_add_co_ci_u32_e64 v65, null, v127, v129, vcc_lo
	v_add_co_u32 v66, vcc_lo, v126, v130
	s_wait_alu depctr_va_vcc(0)
	v_add_co_ci_u32_e64 v67, null, v127, v131, vcc_lo
	;; [unrolled: 3-line block ×60, first 2 shown]
	v_add_co_u32 v184, vcc_lo, v190, v184
	s_mov_b32 s0, 0x3f317218
	s_wait_alu depctr_va_vcc(0)
	v_add_co_ci_u32_e64 v185, null, v191, v185, vcc_lo
	v_add_co_u32 v186, vcc_lo, v190, v186
	.loc	1 259 22 is_stmt 1              ; attention_bwd.py:259:22
	s_wait_alu depctr_sa_sdst(0)
	v_fma_mixlo_f16 v24, v0, s0, 0
	.loc	1 257 50                        ; attention_bwd.py:257:50
	s_wait_alu depctr_va_vcc(0)
	v_add_co_ci_u32_e64 v187, null, v191, v187, vcc_lo
	v_add_co_u32 v188, vcc_lo, v190, v188
	.loc	1 259 22                        ; attention_bwd.py:259:22
	v_fma_mixlo_f16 v25, v1, s0, 0
	v_fma_mixlo_f16 v26, v2, s0, 0
	.loc	1 257 50                        ; attention_bwd.py:257:50
	s_wait_alu depctr_va_vcc(0)
	v_add_co_ci_u32_e64 v189, null, v191, v189, vcc_lo
	v_add_co_u32 v190, vcc_lo, v190, v192
	.loc	1 259 22                        ; attention_bwd.py:259:22
	v_fma_mixlo_f16 v27, v3, s0, 0
	v_fma_mixlo_f16 v28, v4, s0, 0
	.loc	1 257 50                        ; attention_bwd.py:257:50
	s_wait_alu depctr_va_vcc(0)
	v_add_co_ci_u32_e64 v191, null, v191, v193, vcc_lo
	.loc	1 259 22                        ; attention_bwd.py:259:22
	v_fma_mixlo_f16 v29, v5, s0, 0
	v_fma_mixlo_f16 v30, v6, s0, 0
	;; [unrolled: 1-line block ×59, first 2 shown]
	s_clause 0x1f
	global_store_b16 v[64:65], v24, off
	global_store_b16 v[66:67], v25, off
	;; [unrolled: 1-line block ×32, first 2 shown]
	s_clause 0x1f
	global_store_b16 v[128:129], v32, off
	global_store_b16 v[130:131], v33, off
	;; [unrolled: 1-line block ×32, first 2 shown]
	.loc	1 259 4 is_stmt 0               ; attention_bwd.py:259:4
	s_nop 0
	s_sendmsg sendmsg(MSG_DEALLOC_VGPRS)
	s_endpgm
.LBB0_123:
.Ltmp50:
	.loc	1 93 49 is_stmt 1               ; attention_bwd.py:93:49 @[ attention_bwd.py:253:40 ]
	s_lshl_b64 s[0:1], s[16:17], 1
	s_wait_alu depctr_sa_sdst(0)
	v_add_co_u32 v5, vcc_lo, v3, s0
	s_wait_alu depctr_va_vcc(0)
	v_add_co_ci_u32_e64 v6, null, s1, v4, vcc_lo
	.loc	1 102 21                        ; attention_bwd.py:102:21 @[ attention_bwd.py:253:40 ]
	global_load_u16 v131, v[5:6], off
	s_and_b32 vcc_lo, exec_lo, s33
	s_wait_alu depctr_sa_sdst(0)
	s_cbranch_vccnz .LBB0_84
.LBB0_124:
	.loc	1 93 49                         ; attention_bwd.py:93:49 @[ attention_bwd.py:253:40 ]
	s_lshl_b64 s[0:1], s[18:19], 1
	s_wait_alu depctr_sa_sdst(0)
	v_add_co_u32 v5, vcc_lo, v3, s0
	s_wait_alu depctr_va_vcc(0)
	v_add_co_ci_u32_e64 v6, null, s1, v4, vcc_lo
	.loc	1 102 21                        ; attention_bwd.py:102:21 @[ attention_bwd.py:253:40 ]
	global_load_u16 v130, v[5:6], off
	v_dual_mov_b32 v132, 0 :: v_dual_mov_b32 v133, 0
	s_and_b32 vcc_lo, exec_lo, s33
	s_wait_alu depctr_sa_sdst(0)
	s_cbranch_vccnz .LBB0_85
.LBB0_125:
	.loc	1 93 49                         ; attention_bwd.py:93:49 @[ attention_bwd.py:253:40 ]
	s_lshl_b64 s[0:1], s[20:21], 1
	s_wait_alu depctr_sa_sdst(0)
	v_add_co_u32 v5, vcc_lo, v3, s0
	s_wait_alu depctr_va_vcc(0)
	v_add_co_ci_u32_e64 v6, null, s1, v4, vcc_lo
	.loc	1 102 21                        ; attention_bwd.py:102:21 @[ attention_bwd.py:253:40 ]
	global_load_u16 v133, v[5:6], off
	s_and_b32 vcc_lo, exec_lo, s33
	s_wait_alu depctr_sa_sdst(0)
	s_cbranch_vccnz .LBB0_86
.LBB0_126:
	.loc	1 93 49                         ; attention_bwd.py:93:49 @[ attention_bwd.py:253:40 ]
	s_lshl_b64 s[0:1], s[22:23], 1
	s_wait_alu depctr_sa_sdst(0)
	v_add_co_u32 v5, vcc_lo, v3, s0
	s_wait_alu depctr_va_vcc(0)
	v_add_co_ci_u32_e64 v6, null, s1, v4, vcc_lo
	.loc	1 102 21                        ; attention_bwd.py:102:21 @[ attention_bwd.py:253:40 ]
	global_load_u16 v132, v[5:6], off
	v_dual_mov_b32 v134, 0 :: v_dual_mov_b32 v135, 0
	s_and_b32 vcc_lo, exec_lo, s33
	s_wait_alu depctr_sa_sdst(0)
	s_cbranch_vccnz .LBB0_87
.LBB0_127:
	.loc	1 93 49                         ; attention_bwd.py:93:49 @[ attention_bwd.py:253:40 ]
	s_lshl_b64 s[0:1], s[24:25], 1
	s_wait_alu depctr_sa_sdst(0)
	v_add_co_u32 v5, vcc_lo, v3, s0
	s_wait_alu depctr_va_vcc(0)
	v_add_co_ci_u32_e64 v6, null, s1, v4, vcc_lo
	.loc	1 102 21                        ; attention_bwd.py:102:21 @[ attention_bwd.py:253:40 ]
	global_load_u16 v135, v[5:6], off
	s_and_b32 vcc_lo, exec_lo, s33
	s_wait_alu depctr_sa_sdst(0)
	s_cbranch_vccnz .LBB0_88
.LBB0_128:
	.loc	1 93 49                         ; attention_bwd.py:93:49 @[ attention_bwd.py:253:40 ]
	s_lshl_b64 s[0:1], s[26:27], 1
	s_wait_alu depctr_sa_sdst(0)
	v_add_co_u32 v5, vcc_lo, v3, s0
	s_wait_alu depctr_va_vcc(0)
	v_add_co_ci_u32_e64 v6, null, s1, v4, vcc_lo
	.loc	1 102 21                        ; attention_bwd.py:102:21 @[ attention_bwd.py:253:40 ]
	global_load_u16 v134, v[5:6], off
	v_dual_mov_b32 v136, 0 :: v_dual_mov_b32 v137, 0
	s_and_b32 vcc_lo, exec_lo, s33
	s_wait_alu depctr_sa_sdst(0)
	s_cbranch_vccnz .LBB0_89
.LBB0_129:
	.loc	1 93 49                         ; attention_bwd.py:93:49 @[ attention_bwd.py:253:40 ]
	s_lshl_b64 s[0:1], s[28:29], 1
	s_wait_alu depctr_sa_sdst(0)
	v_add_co_u32 v5, vcc_lo, v3, s0
	s_wait_alu depctr_va_vcc(0)
	v_add_co_ci_u32_e64 v6, null, s1, v4, vcc_lo
	.loc	1 102 21                        ; attention_bwd.py:102:21 @[ attention_bwd.py:253:40 ]
	global_load_u16 v137, v[5:6], off
	s_and_b32 vcc_lo, exec_lo, s33
	s_wait_alu depctr_sa_sdst(0)
	s_cbranch_vccnz .LBB0_90
.LBB0_130:
	.loc	1 93 49                         ; attention_bwd.py:93:49 @[ attention_bwd.py:253:40 ]
	s_lshl_b64 s[0:1], s[30:31], 1
	s_wait_alu depctr_sa_sdst(0)
	v_add_co_u32 v5, vcc_lo, v3, s0
	s_wait_alu depctr_va_vcc(0)
	v_add_co_ci_u32_e64 v6, null, s1, v4, vcc_lo
	.loc	1 102 21                        ; attention_bwd.py:102:21 @[ attention_bwd.py:253:40 ]
	global_load_u16 v136, v[5:6], off
	v_dual_mov_b32 v138, 0 :: v_dual_mov_b32 v139, 0
	s_and_b32 vcc_lo, exec_lo, s33
	s_wait_alu depctr_sa_sdst(0)
	s_cbranch_vccnz .LBB0_91
.LBB0_131:
	.loc	1 93 49                         ; attention_bwd.py:93:49 @[ attention_bwd.py:253:40 ]
	s_lshl_b64 s[0:1], s[34:35], 1
	s_wait_alu depctr_sa_sdst(0)
	v_add_co_u32 v5, vcc_lo, v3, s0
	s_wait_alu depctr_va_vcc(0)
	v_add_co_ci_u32_e64 v6, null, s1, v4, vcc_lo
	.loc	1 102 21                        ; attention_bwd.py:102:21 @[ attention_bwd.py:253:40 ]
	global_load_u16 v139, v[5:6], off
	s_and_b32 vcc_lo, exec_lo, s33
	s_wait_alu depctr_sa_sdst(0)
	s_cbranch_vccnz .LBB0_92
.LBB0_132:
	.loc	1 93 49                         ; attention_bwd.py:93:49 @[ attention_bwd.py:253:40 ]
	s_lshl_b64 s[0:1], s[36:37], 1
	s_wait_alu depctr_sa_sdst(0)
	v_add_co_u32 v5, vcc_lo, v3, s0
	s_wait_alu depctr_va_vcc(0)
	v_add_co_ci_u32_e64 v6, null, s1, v4, vcc_lo
	.loc	1 102 21                        ; attention_bwd.py:102:21 @[ attention_bwd.py:253:40 ]
	global_load_u16 v138, v[5:6], off
	v_dual_mov_b32 v140, 0 :: v_dual_mov_b32 v141, 0
	s_and_b32 vcc_lo, exec_lo, s33
	s_wait_alu depctr_sa_sdst(0)
	s_cbranch_vccnz .LBB0_93
.LBB0_133:
	.loc	1 93 49                         ; attention_bwd.py:93:49 @[ attention_bwd.py:253:40 ]
	s_lshl_b64 s[0:1], s[38:39], 1
	s_wait_alu depctr_sa_sdst(0)
	v_add_co_u32 v5, vcc_lo, v3, s0
	s_wait_alu depctr_va_vcc(0)
	v_add_co_ci_u32_e64 v6, null, s1, v4, vcc_lo
	.loc	1 102 21                        ; attention_bwd.py:102:21 @[ attention_bwd.py:253:40 ]
	global_load_u16 v141, v[5:6], off
	s_and_b32 vcc_lo, exec_lo, s33
	s_wait_alu depctr_sa_sdst(0)
	s_cbranch_vccnz .LBB0_94
.LBB0_134:
	.loc	1 93 49                         ; attention_bwd.py:93:49 @[ attention_bwd.py:253:40 ]
	s_lshl_b64 s[0:1], s[40:41], 1
	s_wait_alu depctr_sa_sdst(0)
	v_add_co_u32 v5, vcc_lo, v3, s0
	s_wait_alu depctr_va_vcc(0)
	v_add_co_ci_u32_e64 v6, null, s1, v4, vcc_lo
	.loc	1 102 21                        ; attention_bwd.py:102:21 @[ attention_bwd.py:253:40 ]
	global_load_u16 v140, v[5:6], off
	v_dual_mov_b32 v142, 0 :: v_dual_mov_b32 v143, 0
	s_and_b32 vcc_lo, exec_lo, s33
	s_wait_alu depctr_sa_sdst(0)
	s_cbranch_vccnz .LBB0_95
.LBB0_135:
	.loc	1 93 49                         ; attention_bwd.py:93:49 @[ attention_bwd.py:253:40 ]
	s_lshl_b64 s[0:1], s[10:11], 1
	s_wait_alu depctr_sa_sdst(0)
	v_add_co_u32 v5, vcc_lo, v3, s0
	s_wait_alu depctr_va_vcc(0)
	v_add_co_ci_u32_e64 v6, null, s1, v4, vcc_lo
	.loc	1 102 21                        ; attention_bwd.py:102:21 @[ attention_bwd.py:253:40 ]
	global_load_u16 v143, v[5:6], off
	s_and_b32 vcc_lo, exec_lo, s33
	s_wait_alu depctr_sa_sdst(0)
	s_cbranch_vccz .LBB0_96
	s_branch .LBB0_97
.LBB0_136:
	.loc	1 94 49                         ; attention_bwd.py:94:49 @[ attention_bwd.py:253:40 ]
	s_lshl_b64 s[0:1], s[6:7], 1
	s_wait_alu depctr_sa_sdst(0)
	v_add_co_u32 v5, vcc_lo, v3, s0
	s_wait_alu depctr_va_vcc(0)
	v_add_co_ci_u32_e64 v6, null, s1, v4, vcc_lo
	.loc	1 103 21                        ; attention_bwd.py:103:21 @[ attention_bwd.py:253:40 ]
	global_load_u16 v145, v[5:6], off
	s_and_b32 vcc_lo, exec_lo, s33
	s_wait_alu depctr_sa_sdst(0)
	s_cbranch_vccnz .LBB0_99
.LBB0_137:
	.loc	1 94 49                         ; attention_bwd.py:94:49 @[ attention_bwd.py:253:40 ]
	s_lshl_b64 s[0:1], s[14:15], 1
	s_wait_alu depctr_sa_sdst(0)
	v_add_co_u32 v5, vcc_lo, v3, s0
	s_wait_alu depctr_va_vcc(0)
	v_add_co_ci_u32_e64 v6, null, s1, v4, vcc_lo
	.loc	1 103 21                        ; attention_bwd.py:103:21 @[ attention_bwd.py:253:40 ]
	global_load_u16 v144, v[5:6], off
	v_dual_mov_b32 v146, 0 :: v_dual_mov_b32 v147, 0
	s_and_b32 vcc_lo, exec_lo, s33
	s_wait_alu depctr_sa_sdst(0)
	s_cbranch_vccnz .LBB0_100
.LBB0_138:
	.loc	1 94 49                         ; attention_bwd.py:94:49 @[ attention_bwd.py:253:40 ]
	s_lshl_b64 s[0:1], s[16:17], 1
	s_wait_alu depctr_sa_sdst(0)
	v_add_co_u32 v5, vcc_lo, v3, s0
	s_wait_alu depctr_va_vcc(0)
	v_add_co_ci_u32_e64 v6, null, s1, v4, vcc_lo
	.loc	1 103 21                        ; attention_bwd.py:103:21 @[ attention_bwd.py:253:40 ]
	global_load_u16 v147, v[5:6], off
	s_and_b32 vcc_lo, exec_lo, s33
	s_wait_alu depctr_sa_sdst(0)
	s_cbranch_vccnz .LBB0_101
.LBB0_139:
	.loc	1 94 49                         ; attention_bwd.py:94:49 @[ attention_bwd.py:253:40 ]
	s_lshl_b64 s[0:1], s[18:19], 1
	s_wait_alu depctr_sa_sdst(0)
	v_add_co_u32 v5, vcc_lo, v3, s0
	s_wait_alu depctr_va_vcc(0)
	v_add_co_ci_u32_e64 v6, null, s1, v4, vcc_lo
	.loc	1 103 21                        ; attention_bwd.py:103:21 @[ attention_bwd.py:253:40 ]
	global_load_u16 v146, v[5:6], off
	v_dual_mov_b32 v148, 0 :: v_dual_mov_b32 v149, 0
	s_and_b32 vcc_lo, exec_lo, s33
	s_wait_alu depctr_sa_sdst(0)
	s_cbranch_vccnz .LBB0_102
.LBB0_140:
	.loc	1 94 49                         ; attention_bwd.py:94:49 @[ attention_bwd.py:253:40 ]
	s_lshl_b64 s[0:1], s[20:21], 1
	s_wait_alu depctr_sa_sdst(0)
	v_add_co_u32 v5, vcc_lo, v3, s0
	s_wait_alu depctr_va_vcc(0)
	v_add_co_ci_u32_e64 v6, null, s1, v4, vcc_lo
	.loc	1 103 21                        ; attention_bwd.py:103:21 @[ attention_bwd.py:253:40 ]
	global_load_u16 v149, v[5:6], off
	s_and_b32 vcc_lo, exec_lo, s33
	s_wait_alu depctr_sa_sdst(0)
	s_cbranch_vccnz .LBB0_103
.LBB0_141:
	.loc	1 94 49                         ; attention_bwd.py:94:49 @[ attention_bwd.py:253:40 ]
	s_lshl_b64 s[0:1], s[22:23], 1
	s_wait_alu depctr_sa_sdst(0)
	v_add_co_u32 v5, vcc_lo, v3, s0
	s_wait_alu depctr_va_vcc(0)
	v_add_co_ci_u32_e64 v6, null, s1, v4, vcc_lo
	.loc	1 103 21                        ; attention_bwd.py:103:21 @[ attention_bwd.py:253:40 ]
	global_load_u16 v148, v[5:6], off
	v_dual_mov_b32 v150, 0 :: v_dual_mov_b32 v151, 0
	s_and_b32 vcc_lo, exec_lo, s33
	s_wait_alu depctr_sa_sdst(0)
	s_cbranch_vccnz .LBB0_104
.LBB0_142:
	.loc	1 94 49                         ; attention_bwd.py:94:49 @[ attention_bwd.py:253:40 ]
	s_lshl_b64 s[0:1], s[24:25], 1
	s_wait_alu depctr_sa_sdst(0)
	v_add_co_u32 v5, vcc_lo, v3, s0
	s_wait_alu depctr_va_vcc(0)
	v_add_co_ci_u32_e64 v6, null, s1, v4, vcc_lo
	.loc	1 103 21                        ; attention_bwd.py:103:21 @[ attention_bwd.py:253:40 ]
	global_load_u16 v151, v[5:6], off
	s_and_b32 vcc_lo, exec_lo, s33
	s_wait_alu depctr_sa_sdst(0)
	s_cbranch_vccnz .LBB0_105
.LBB0_143:
	.loc	1 94 49                         ; attention_bwd.py:94:49 @[ attention_bwd.py:253:40 ]
	s_lshl_b64 s[0:1], s[26:27], 1
	s_wait_alu depctr_sa_sdst(0)
	v_add_co_u32 v5, vcc_lo, v3, s0
	s_wait_alu depctr_va_vcc(0)
	v_add_co_ci_u32_e64 v6, null, s1, v4, vcc_lo
	.loc	1 103 21                        ; attention_bwd.py:103:21 @[ attention_bwd.py:253:40 ]
	global_load_u16 v150, v[5:6], off
	v_dual_mov_b32 v152, 0 :: v_dual_mov_b32 v153, 0
	s_and_b32 vcc_lo, exec_lo, s33
	s_wait_alu depctr_sa_sdst(0)
	s_cbranch_vccnz .LBB0_106
.LBB0_144:
	.loc	1 94 49                         ; attention_bwd.py:94:49 @[ attention_bwd.py:253:40 ]
	s_lshl_b64 s[0:1], s[28:29], 1
	s_wait_alu depctr_sa_sdst(0)
	v_add_co_u32 v5, vcc_lo, v3, s0
	s_wait_alu depctr_va_vcc(0)
	v_add_co_ci_u32_e64 v6, null, s1, v4, vcc_lo
	.loc	1 103 21                        ; attention_bwd.py:103:21 @[ attention_bwd.py:253:40 ]
	global_load_u16 v153, v[5:6], off
	s_and_b32 vcc_lo, exec_lo, s33
	s_wait_alu depctr_sa_sdst(0)
	s_cbranch_vccnz .LBB0_107
.LBB0_145:
	.loc	1 94 49                         ; attention_bwd.py:94:49 @[ attention_bwd.py:253:40 ]
	s_lshl_b64 s[0:1], s[30:31], 1
	s_wait_alu depctr_sa_sdst(0)
	v_add_co_u32 v5, vcc_lo, v3, s0
	s_wait_alu depctr_va_vcc(0)
	v_add_co_ci_u32_e64 v6, null, s1, v4, vcc_lo
	.loc	1 103 21                        ; attention_bwd.py:103:21 @[ attention_bwd.py:253:40 ]
	global_load_u16 v152, v[5:6], off
	v_dual_mov_b32 v154, 0 :: v_dual_mov_b32 v155, 0
	s_and_b32 vcc_lo, exec_lo, s33
	s_wait_alu depctr_sa_sdst(0)
	s_cbranch_vccnz .LBB0_108
.LBB0_146:
	.loc	1 94 49                         ; attention_bwd.py:94:49 @[ attention_bwd.py:253:40 ]
	s_lshl_b64 s[0:1], s[34:35], 1
	s_wait_alu depctr_sa_sdst(0)
	v_add_co_u32 v5, vcc_lo, v3, s0
	s_wait_alu depctr_va_vcc(0)
	v_add_co_ci_u32_e64 v6, null, s1, v4, vcc_lo
	.loc	1 103 21                        ; attention_bwd.py:103:21 @[ attention_bwd.py:253:40 ]
	global_load_u16 v155, v[5:6], off
	s_and_b32 vcc_lo, exec_lo, s33
	s_wait_alu depctr_sa_sdst(0)
	s_cbranch_vccnz .LBB0_109
.LBB0_147:
	.loc	1 94 49                         ; attention_bwd.py:94:49 @[ attention_bwd.py:253:40 ]
	s_lshl_b64 s[0:1], s[36:37], 1
	s_wait_alu depctr_sa_sdst(0)
	v_add_co_u32 v5, vcc_lo, v3, s0
	s_wait_alu depctr_va_vcc(0)
	v_add_co_ci_u32_e64 v6, null, s1, v4, vcc_lo
	.loc	1 103 21                        ; attention_bwd.py:103:21 @[ attention_bwd.py:253:40 ]
	global_load_u16 v154, v[5:6], off
	v_dual_mov_b32 v156, 0 :: v_dual_mov_b32 v157, 0
	s_and_b32 vcc_lo, exec_lo, s33
	s_wait_alu depctr_sa_sdst(0)
	s_cbranch_vccnz .LBB0_110
.LBB0_148:
	.loc	1 94 49                         ; attention_bwd.py:94:49 @[ attention_bwd.py:253:40 ]
	s_lshl_b64 s[0:1], s[38:39], 1
	s_wait_alu depctr_sa_sdst(0)
	v_add_co_u32 v5, vcc_lo, v3, s0
	s_wait_alu depctr_va_vcc(0)
	v_add_co_ci_u32_e64 v6, null, s1, v4, vcc_lo
	.loc	1 103 21                        ; attention_bwd.py:103:21 @[ attention_bwd.py:253:40 ]
	global_load_u16 v157, v[5:6], off
	s_and_b32 vcc_lo, exec_lo, s33
	s_wait_alu depctr_sa_sdst(0)
	s_cbranch_vccz .LBB0_111
	s_branch .LBB0_112
.Ltmp51:
	.section	.rodata,"a",@progbits
	.p2align	6, 0x0
	.amdhsa_kernel _attn_bwd
		.amdhsa_group_segment_fixed_size 0
		.amdhsa_private_segment_fixed_size 1440
		.amdhsa_kernarg_size 120
		.amdhsa_user_sgpr_count 2
		.amdhsa_user_sgpr_dispatch_ptr 0
		.amdhsa_user_sgpr_queue_ptr 0
		.amdhsa_user_sgpr_kernarg_segment_ptr 1
		.amdhsa_user_sgpr_dispatch_id 0
		.amdhsa_user_sgpr_private_segment_size 0
		.amdhsa_wavefront_size32 1
		.amdhsa_uses_dynamic_stack 0
		.amdhsa_enable_private_segment 1
		.amdhsa_system_sgpr_workgroup_id_x 1
		.amdhsa_system_sgpr_workgroup_id_y 1
		.amdhsa_system_sgpr_workgroup_id_z 1
		.amdhsa_system_sgpr_workgroup_info 0
		.amdhsa_system_vgpr_workitem_id 0
		.amdhsa_next_free_vgpr 256
		.amdhsa_next_free_sgpr 105
		.amdhsa_reserve_vcc 1
		.amdhsa_float_round_mode_32 0
		.amdhsa_float_round_mode_16_64 0
		.amdhsa_float_denorm_mode_32 3
		.amdhsa_float_denorm_mode_16_64 3
		.amdhsa_fp16_overflow 0
		.amdhsa_workgroup_processor_mode 1
		.amdhsa_memory_ordered 1
		.amdhsa_forward_progress 1
		.amdhsa_inst_pref_size 255
		.amdhsa_round_robin_scheduling 0
		.amdhsa_exception_fp_ieee_invalid_op 0
		.amdhsa_exception_fp_denorm_src 0
		.amdhsa_exception_fp_ieee_div_zero 0
		.amdhsa_exception_fp_ieee_overflow 0
		.amdhsa_exception_fp_ieee_underflow 0
		.amdhsa_exception_fp_ieee_inexact 0
		.amdhsa_exception_int_div_zero 0
	.end_amdhsa_kernel
	.text
.Lfunc_end0:
	.size	_attn_bwd, .Lfunc_end0-_attn_bwd
	.cfi_endproc
                                        ; -- End function
	.set _attn_bwd.num_vgpr, 256
	.set _attn_bwd.num_agpr, 0
	.set _attn_bwd.numbered_sgpr, 105
	.set _attn_bwd.num_named_barrier, 0
	.set _attn_bwd.private_seg_size, 1440
	.set _attn_bwd.uses_vcc, 1
	.set _attn_bwd.uses_flat_scratch, 1
	.set _attn_bwd.has_dyn_sized_stack, 0
	.set _attn_bwd.has_recursion, 0
	.set _attn_bwd.has_indirect_call, 0
	.section	.AMDGPU.csdata,"",@progbits
; Kernel info:
; codeLenInByte = 63048
; TotalNumSgprs: 107
; NumVgprs: 256
; ScratchSize: 1440
; MemoryBound: 0
; FloatMode: 240
; IeeeMode: 1
; LDSByteSize: 0 bytes/workgroup (compile time only)
; SGPRBlocks: 0
; VGPRBlocks: 31
; NumSGPRsForWavesPerEU: 107
; NumVGPRsForWavesPerEU: 256
; Occupancy: 5
; WaveLimiterHint : 0
; COMPUTE_PGM_RSRC2:SCRATCH_EN: 1
; COMPUTE_PGM_RSRC2:USER_SGPR: 2
; COMPUTE_PGM_RSRC2:TRAP_HANDLER: 0
; COMPUTE_PGM_RSRC2:TGID_X_EN: 1
; COMPUTE_PGM_RSRC2:TGID_Y_EN: 1
; COMPUTE_PGM_RSRC2:TGID_Z_EN: 1
; COMPUTE_PGM_RSRC2:TIDIG_COMP_CNT: 0
	.text
	.p2alignl 7, 3214868480
	.fill 96, 4, 3214868480
	.section	.AMDGPU.gpr_maximums,"",@progbits
	.set amdgpu.max_num_vgpr, 0
	.set amdgpu.max_num_agpr, 0
	.set amdgpu.max_num_sgpr, 0
	.set amdgpu.max_num_named_barrier, 0
	.text
	.section	.debug_abbrev,"",@progbits
	.byte	1                               ; Abbreviation Code
	.byte	17                              ; DW_TAG_compile_unit
	.byte	1                               ; DW_CHILDREN_yes
	.byte	37                              ; DW_AT_producer
	.byte	14                              ; DW_FORM_strp
	.byte	19                              ; DW_AT_language
	.byte	5                               ; DW_FORM_data2
	.byte	3                               ; DW_AT_name
	.byte	14                              ; DW_FORM_strp
	.byte	16                              ; DW_AT_stmt_list
	.byte	23                              ; DW_FORM_sec_offset
	.byte	27                              ; DW_AT_comp_dir
	.byte	14                              ; DW_FORM_strp
	.byte	17                              ; DW_AT_low_pc
	.byte	1                               ; DW_FORM_addr
	.byte	18                              ; DW_AT_high_pc
	.byte	6                               ; DW_FORM_data4
	.byte	0                               ; EOM(1)
	.byte	0                               ; EOM(2)
	.byte	2                               ; Abbreviation Code
	.byte	46                              ; DW_TAG_subprogram
	.byte	0                               ; DW_CHILDREN_no
	.byte	3                               ; DW_AT_name
	.byte	14                              ; DW_FORM_strp
	.byte	32                              ; DW_AT_inline
	.byte	11                              ; DW_FORM_data1
	.byte	0                               ; EOM(1)
	.byte	0                               ; EOM(2)
	.byte	3                               ; Abbreviation Code
	.byte	46                              ; DW_TAG_subprogram
	.byte	1                               ; DW_CHILDREN_yes
	.byte	17                              ; DW_AT_low_pc
	.byte	1                               ; DW_FORM_addr
	.byte	18                              ; DW_AT_high_pc
	.byte	6                               ; DW_FORM_data4
	.byte	49                              ; DW_AT_abstract_origin
	.byte	19                              ; DW_FORM_ref4
	.byte	0                               ; EOM(1)
	.byte	0                               ; EOM(2)
	.byte	4                               ; Abbreviation Code
	.byte	29                              ; DW_TAG_inlined_subroutine
	.byte	0                               ; DW_CHILDREN_no
	.byte	49                              ; DW_AT_abstract_origin
	.byte	19                              ; DW_FORM_ref4
	.byte	85                              ; DW_AT_ranges
	.byte	23                              ; DW_FORM_sec_offset
	.byte	88                              ; DW_AT_call_file
	.byte	11                              ; DW_FORM_data1
	.byte	89                              ; DW_AT_call_line
	.byte	11                              ; DW_FORM_data1
	.byte	87                              ; DW_AT_call_column
	.byte	11                              ; DW_FORM_data1
	.byte	0                               ; EOM(1)
	.byte	0                               ; EOM(2)
	;; [unrolled: 1-line block ×3, first 2 shown]
	.section	.debug_info,"",@progbits
.Lcu_begin0:
	.long	.Ldebug_info_end0-.Ldebug_info_start0 ; Length of Unit
.Ldebug_info_start0:
	.short	4                               ; DWARF version number
	.long	.debug_abbrev                   ; Offset Into Abbrev. Section
	.byte	8                               ; Address Size (in bytes)
	.byte	1                               ; Abbrev [1] 0xb:0x50 DW_TAG_compile_unit
	.long	.Linfo_string0                  ; DW_AT_producer
	.short	2                               ; DW_AT_language
	.long	.Linfo_string1                  ; DW_AT_name
	.long	.Lline_table_start0             ; DW_AT_stmt_list
	.long	.Linfo_string2                  ; DW_AT_comp_dir
	.quad	.Lfunc_begin0                   ; DW_AT_low_pc
	.long	.Lfunc_end0-.Lfunc_begin0       ; DW_AT_high_pc
	.byte	2                               ; Abbrev [2] 0x2a:0x6 DW_TAG_subprogram
	.long	.Linfo_string3                  ; DW_AT_name
	.byte	1                               ; DW_AT_inline
	.byte	3                               ; Abbrev [3] 0x30:0x2a DW_TAG_subprogram
	.quad	.Lfunc_begin0                   ; DW_AT_low_pc
	.long	.Lfunc_end0-.Lfunc_begin0       ; DW_AT_high_pc
	.long	42                              ; DW_AT_abstract_origin
	.byte	4                               ; Abbrev [4] 0x41:0xc DW_TAG_inlined_subroutine
	.long	42                              ; DW_AT_abstract_origin
	.long	.Ldebug_ranges0                 ; DW_AT_ranges
	.byte	1                               ; DW_AT_call_file
	.byte	253                             ; DW_AT_call_line
	.byte	40                              ; DW_AT_call_column
	.byte	4                               ; Abbrev [4] 0x4d:0xc DW_TAG_inlined_subroutine
	.long	42                              ; DW_AT_abstract_origin
	.long	.Ldebug_ranges1                 ; DW_AT_ranges
	.byte	1                               ; DW_AT_call_file
	.byte	200                             ; DW_AT_call_line
	.byte	26                              ; DW_AT_call_column
	.byte	0                               ; End Of Children Mark
	.byte	0                               ; End Of Children Mark
.Ldebug_info_end0:
	.section	.debug_ranges,"",@progbits
.Ldebug_ranges0:
	.quad	.Ltmp0-.Lfunc_begin0
	.quad	.Ltmp1-.Lfunc_begin0
	;; [unrolled: 1-line block ×10, first 2 shown]
	.quad	0
	.quad	0
.Ldebug_ranges1:
	.quad	.Ltmp2-.Lfunc_begin0
	.quad	.Ltmp3-.Lfunc_begin0
	;; [unrolled: 1-line block ×42, first 2 shown]
	.quad	0
	.quad	0
	.section	.debug_str,"MS",@progbits,1
.Linfo_string0:
	.asciz	"triton"                        ; string offset=0
.Linfo_string1:
	.asciz	"attention_bwd.py"              ; string offset=7
.Linfo_string2:
	.asciz	"/root/src/amdgpu-assembly/repos/triton-lang__triton-aot" ; string offset=24
.Linfo_string3:
	.asciz	"_attn_bwd"                     ; string offset=80
	.section	".note.GNU-stack","",@progbits
	.amdgpu_metadata
---
amdhsa.kernels:
  - .args:
      - .address_space:  global
        .offset:         0
        .size:           8
        .value_kind:     global_buffer
      - .address_space:  global
        .offset:         8
        .size:           8
        .value_kind:     global_buffer
      - .address_space:  global
        .offset:         16
        .size:           8
        .value_kind:     global_buffer
      - .offset:         24
        .size:           4
        .value_kind:     by_value
      - .address_space:  global
        .offset:         32
        .size:           8
        .value_kind:     global_buffer
      - .address_space:  global
        .offset:         40
        .size:           8
        .value_kind:     global_buffer
      - .address_space:  global
        .offset:         48
        .size:           8
        .value_kind:     global_buffer
      - .address_space:  global
        .offset:         56
        .size:           8
        .value_kind:     global_buffer
      - .address_space:  global
        .offset:         64
        .size:           8
        .value_kind:     global_buffer
      - .address_space:  global
        .offset:         72
        .size:           8
        .value_kind:     global_buffer
      - .offset:         80
        .size:           4
        .value_kind:     by_value
      - .offset:         84
        .size:           4
        .value_kind:     by_value
      - .offset:         88
        .size:           4
        .value_kind:     by_value
      - .offset:         92
        .size:           4
        .value_kind:     by_value
      - .offset:         96
        .size:           4
        .value_kind:     by_value
      - .offset:         100
        .size:           4
        .value_kind:     by_value
      - .address_space:  global
        .offset:         104
        .size:           8
        .value_kind:     global_buffer
      - .address_space:  global
        .offset:         112
        .size:           8
        .value_kind:     global_buffer
    .group_segment_fixed_size: 0
    .kernarg_segment_align: 8
    .kernarg_segment_size: 120
    .max_flat_workgroup_size: 128
    .name:           _attn_bwd
    .private_segment_fixed_size: 1440
    .sgpr_count:     107
    .sgpr_spill_count: 192
    .symbol:         _attn_bwd.kd
    .uniform_work_group_size: 1
    .uses_dynamic_stack: false
    .vgpr_count:     256
    .vgpr_spill_count: 767
    .wavefront_size: 32
    .workgroup_processor_mode: 1
amdhsa.target:   amdgcn-amd-amdhsa--gfx1201
amdhsa.version:
  - 1
  - 2
...

	.end_amdgpu_metadata
	.section	.debug_line,"",@progbits
.Lline_table_start0:
